;; amdgpu-corpus repo=ROCm/rocFFT kind=compiled arch=gfx1201 opt=O3
	.text
	.amdgcn_target "amdgcn-amd-amdhsa--gfx1201"
	.amdhsa_code_object_version 6
	.protected	bluestein_single_back_len1134_dim1_dp_op_CI_CI ; -- Begin function bluestein_single_back_len1134_dim1_dp_op_CI_CI
	.globl	bluestein_single_back_len1134_dim1_dp_op_CI_CI
	.p2align	8
	.type	bluestein_single_back_len1134_dim1_dp_op_CI_CI,@function
bluestein_single_back_len1134_dim1_dp_op_CI_CI: ; @bluestein_single_back_len1134_dim1_dp_op_CI_CI
; %bb.0:
	s_load_b128 s[8:11], s[0:1], 0x28
	v_mul_u32_u24_e32 v1, 0x209, v0
	s_mov_b32 s2, exec_lo
	v_mov_b32_e32 v3, 0
	s_delay_alu instid0(VALU_DEP_2) | instskip(NEXT) | instid1(VALU_DEP_1)
	v_lshrrev_b32_e32 v1, 16, v1
	v_add_nc_u32_e32 v2, ttmp9, v1
	s_wait_kmcnt 0x0
	s_delay_alu instid0(VALU_DEP_1)
	v_cmpx_gt_u64_e64 s[8:9], v[2:3]
	s_cbranch_execz .LBB0_23
; %bb.1:
	s_clause 0x1
	s_load_b128 s[4:7], s[0:1], 0x18
	s_load_b64 s[16:17], s[0:1], 0x0
	v_mul_lo_u16 v1, 0x7e, v1
	s_movk_i32 s2, 0xfe47
	s_mov_b32 s3, -1
	v_mov_b32_e32 v3, v2
	s_delay_alu instid0(VALU_DEP_2) | instskip(NEXT) | instid1(VALU_DEP_1)
	v_sub_nc_u16 v4, v0, v1
	v_and_b32_e32 v220, 0xffff, v4
	scratch_store_b64 off, v[3:4], off offset:8 ; 8-byte Folded Spill
	s_wait_kmcnt 0x0
	s_load_b128 s[12:15], s[4:5], 0x0
	s_wait_kmcnt 0x0
	v_mad_co_u64_u32 v[8:9], null, s14, v2, 0
	v_mad_co_u64_u32 v[16:17], null, s12, v220, 0
	s_mul_u64 s[4:5], s[12:13], 0x237
	s_mul_u64 s[2:3], s[12:13], s[2:3]
	s_delay_alu instid0(SALU_CYCLE_1) | instskip(NEXT) | instid1(VALU_DEP_1)
	s_lshl_b64 s[2:3], s[2:3], 4
	v_dual_mov_b32 v0, v9 :: v_dual_mov_b32 v1, v17
	v_lshlrev_b32_e32 v219, 4, v220
	s_clause 0x1
	global_load_b128 v[98:101], v219, s[16:17]
	global_load_b128 v[102:105], v219, s[16:17] offset:2016
	v_mad_co_u64_u32 v[2:3], null, s15, v2, v[0:1]
	s_delay_alu instid0(VALU_DEP_1) | instskip(SKIP_1) | instid1(VALU_DEP_1)
	v_mad_co_u64_u32 v[10:11], null, s13, v220, v[1:2]
	v_mov_b32_e32 v9, v2
	v_lshlrev_b64_e32 v[18:19], 4, v[8:9]
	s_delay_alu instid0(VALU_DEP_3)
	v_mov_b32_e32 v17, v10
	s_clause 0x2
	global_load_b128 v[8:11], v219, s[16:17] offset:9072
	global_load_b128 v[12:15], v219, s[16:17] offset:11088
	;; [unrolled: 1-line block ×3, first 2 shown]
	v_lshlrev_b64_e32 v[16:17], 4, v[16:17]
	v_add_co_u32 v0, vcc_lo, s10, v18
	v_add_co_ci_u32_e32 v1, vcc_lo, s11, v19, vcc_lo
	s_lshl_b64 s[10:11], s[4:5], 4
	s_delay_alu instid0(VALU_DEP_2) | instskip(SKIP_1) | instid1(VALU_DEP_2)
	v_add_co_u32 v24, vcc_lo, v0, v16
	s_wait_alu 0xfffd
	v_add_co_ci_u32_e32 v25, vcc_lo, v1, v17, vcc_lo
	global_load_b128 v[16:19], v219, s[16:17] offset:4032
	s_wait_alu 0xfffe
	v_add_co_u32 v26, vcc_lo, v24, s10
	s_wait_alu 0xfffd
	v_add_co_ci_u32_e32 v27, vcc_lo, s11, v25, vcc_lo
	s_clause 0x1
	global_load_b128 v[34:37], v[24:25], off
	global_load_b128 v[38:41], v[26:27], off
	v_add_co_u32 v28, vcc_lo, v26, s2
	s_wait_alu 0xfffd
	v_add_co_ci_u32_e32 v29, vcc_lo, s3, v27, vcc_lo
	v_add_co_u32 v0, s12, s16, v219
	s_delay_alu instid0(VALU_DEP_3) | instskip(SKIP_1) | instid1(VALU_DEP_3)
	v_add_co_u32 v30, vcc_lo, v28, s10
	s_wait_alu 0xfffd
	v_add_co_ci_u32_e32 v31, vcc_lo, s11, v29, vcc_lo
	s_clause 0x1
	global_load_b128 v[42:45], v[28:29], off
	global_load_b128 v[46:49], v[30:31], off
	v_add_co_u32 v32, vcc_lo, v30, s2
	s_wait_alu 0xfffd
	v_add_co_ci_u32_e32 v33, vcc_lo, s3, v31, vcc_lo
	s_wait_alu 0xf1ff
	v_add_co_ci_u32_e64 v1, null, s17, 0, s12
	v_add_co_u32 v24, vcc_lo, v32, s10
	s_wait_alu 0xfffd
	v_add_co_ci_u32_e32 v25, vcc_lo, s11, v33, vcc_lo
	global_load_b128 v[50:53], v[32:33], off
	v_add_co_u32 v28, vcc_lo, v24, s2
	s_wait_alu 0xfffd
	v_add_co_ci_u32_e32 v29, vcc_lo, s3, v25, vcc_lo
	s_delay_alu instid0(VALU_DEP_2) | instskip(SKIP_1) | instid1(VALU_DEP_2)
	v_add_co_u32 v32, vcc_lo, v28, s10
	s_wait_alu 0xfffd
	v_add_co_ci_u32_e32 v33, vcc_lo, s11, v29, vcc_lo
	global_load_b128 v[54:57], v[24:25], off
	global_load_b128 v[24:27], v219, s[16:17] offset:6048
	global_load_b128 v[58:61], v[28:29], off
	global_load_b128 v[28:31], v219, s[16:17] offset:15120
	global_load_b128 v[62:65], v[32:33], off
	v_cmp_gt_u16_e32 vcc_lo, 63, v4
	s_wait_loadcnt 0xf
	scratch_store_b128 off, v[98:101], off offset:16 ; 16-byte Folded Spill
	s_wait_loadcnt 0xe
	scratch_store_b128 off, v[102:105], off offset:32 ; 16-byte Folded Spill
	s_load_b64 s[8:9], s[0:1], 0x38
	s_load_b128 s[4:7], s[6:7], 0x0
	scratch_store_b64 off, v[0:1], off      ; 8-byte Folded Spill
	s_wait_loadcnt 0x9
	v_mul_f64_e32 v[66:67], v[36:37], v[100:101]
	v_mul_f64_e32 v[68:69], v[34:35], v[100:101]
	s_wait_loadcnt 0x8
	v_mul_f64_e32 v[70:71], v[40:41], v[10:11]
	v_mul_f64_e32 v[72:73], v[38:39], v[10:11]
	;; [unrolled: 3-line block ×8, first 2 shown]
	v_fma_f64 v[34:35], v[34:35], v[98:99], v[66:67]
	v_fma_f64 v[36:37], v[36:37], v[98:99], -v[68:69]
	v_fma_f64 v[38:39], v[38:39], v[8:9], v[70:71]
	v_fma_f64 v[40:41], v[40:41], v[8:9], -v[72:73]
	;; [unrolled: 2-line block ×4, first 2 shown]
	ds_store_b128 v219, v[34:37]
	ds_store_b128 v219, v[42:45] offset:2016
	ds_store_b128 v219, v[38:41] offset:9072
	;; [unrolled: 1-line block ×3, first 2 shown]
	v_fma_f64 v[50:51], v[50:51], v[16:17], v[82:83]
	v_fma_f64 v[52:53], v[52:53], v[16:17], -v[84:85]
	v_fma_f64 v[58:59], v[58:59], v[24:25], v[90:91]
	v_fma_f64 v[60:61], v[60:61], v[24:25], -v[92:93]
	;; [unrolled: 2-line block ×4, first 2 shown]
	ds_store_b128 v219, v[50:53] offset:4032
	ds_store_b128 v219, v[58:61] offset:6048
	;; [unrolled: 1-line block ×4, first 2 shown]
	s_and_saveexec_b32 s12, vcc_lo
	s_cbranch_execz .LBB0_3
; %bb.2:
	v_add_co_u32 v32, s2, v32, s2
	s_wait_alu 0xf1ff
	v_add_co_ci_u32_e64 v33, s2, s3, v33, s2
	s_delay_alu instid0(VALU_DEP_2) | instskip(SKIP_1) | instid1(VALU_DEP_2)
	v_add_co_u32 v44, s2, v32, s10
	s_wait_alu 0xf1ff
	v_add_co_ci_u32_e64 v45, s2, s11, v33, s2
	global_load_b128 v[32:35], v[32:33], off
	scratch_load_b64 v[0:1], off, off       ; 8-byte Folded Reload
	s_wait_loadcnt 0x0
	s_clause 0x1
	global_load_b128 v[36:39], v[0:1], off offset:8064
	global_load_b128 v[40:43], v[0:1], off offset:17136
	global_load_b128 v[44:47], v[44:45], off
	s_wait_loadcnt 0x2
	v_mul_f64_e32 v[48:49], v[34:35], v[38:39]
	v_mul_f64_e32 v[38:39], v[32:33], v[38:39]
	s_wait_loadcnt 0x0
	v_mul_f64_e32 v[50:51], v[46:47], v[42:43]
	v_mul_f64_e32 v[42:43], v[44:45], v[42:43]
	s_delay_alu instid0(VALU_DEP_4) | instskip(NEXT) | instid1(VALU_DEP_4)
	v_fma_f64 v[32:33], v[32:33], v[36:37], v[48:49]
	v_fma_f64 v[34:35], v[34:35], v[36:37], -v[38:39]
	s_delay_alu instid0(VALU_DEP_4) | instskip(NEXT) | instid1(VALU_DEP_4)
	v_fma_f64 v[36:37], v[44:45], v[40:41], v[50:51]
	v_fma_f64 v[38:39], v[46:47], v[40:41], -v[42:43]
	ds_store_b128 v219, v[32:35] offset:8064
	ds_store_b128 v219, v[36:39] offset:17136
.LBB0_3:
	s_wait_alu 0xfffe
	s_or_b32 exec_lo, exec_lo, s12
	global_wb scope:SCOPE_SE
	s_wait_storecnt_dscnt 0x0
	s_wait_kmcnt 0x0
	s_barrier_signal -1
	s_barrier_wait -1
	global_inv scope:SCOPE_SE
	ds_load_b128 v[40:43], v219
	ds_load_b128 v[44:47], v219 offset:2016
	ds_load_b128 v[68:71], v219 offset:9072
	;; [unrolled: 1-line block ×7, first 2 shown]
	s_load_b64 s[2:3], s[0:1], 0x8
                                        ; implicit-def: $vgpr32_vgpr33
                                        ; implicit-def: $vgpr52_vgpr53
	s_and_saveexec_b32 s0, vcc_lo
	s_cbranch_execz .LBB0_5
; %bb.4:
	ds_load_b128 v[32:35], v219 offset:8064
	ds_load_b128 v[52:55], v219 offset:17136
.LBB0_5:
	s_wait_alu 0xfffe
	s_or_b32 exec_lo, exec_lo, s0
	s_wait_dscnt 0x5
	v_add_f64_e64 v[68:69], v[40:41], -v[68:69]
	v_add_f64_e64 v[70:71], v[42:43], -v[70:71]
	s_wait_dscnt 0x4
	v_add_f64_e64 v[64:65], v[44:45], -v[64:65]
	v_add_f64_e64 v[66:67], v[46:47], -v[66:67]
	;; [unrolled: 3-line block ×4, first 2 shown]
	v_add_f64_e64 v[120:121], v[32:33], -v[52:53]
	v_add_f64_e64 v[122:123], v[34:35], -v[54:55]
	v_add_co_u32 v184, s0, 0x7e, v220
	s_wait_alu 0xf1ff
	v_add_co_ci_u32_e64 v0, null, 0, 0, s0
	v_lshlrev_b16 v0, 1, v220
	v_add_co_u32 v88, s0, 0xfc, v220
	s_wait_alu 0xf1ff
	v_add_co_ci_u32_e64 v1, null, 0, 0, s0
	s_delay_alu instid0(VALU_DEP_3) | instskip(SKIP_3) | instid1(VALU_DEP_4)
	v_and_b32_e32 v0, 0xffff, v0
	v_add_co_u32 v1, null, 0x1f8, v220
	v_lshlrev_b32_e32 v3, 5, v184
	v_lshlrev_b32_e32 v4, 5, v88
	;; [unrolled: 1-line block ×3, first 2 shown]
	s_delay_alu instid0(VALU_DEP_4)
	v_lshlrev_b32_e32 v0, 5, v1
	v_lshlrev_b32_e32 v5, 5, v220
	global_wb scope:SCOPE_SE
	s_wait_kmcnt 0x0
	s_barrier_signal -1
	s_barrier_wait -1
	global_inv scope:SCOPE_SE
	s_clause 0x1
	scratch_store_b32 off, v0, off offset:48
	scratch_store_b32 off, v2, off offset:52
	v_fma_f64 v[40:41], v[40:41], 2.0, -v[68:69]
	v_fma_f64 v[42:43], v[42:43], 2.0, -v[70:71]
	;; [unrolled: 1-line block ×8, first 2 shown]
	ds_store_b128 v2, v[40:43]
	ds_store_b128 v2, v[68:71] offset:16
	ds_store_b128 v3, v[44:47]
	scratch_store_b32 off, v3, off offset:56 ; 4-byte Folded Spill
	ds_store_b128 v3, v[64:67] offset:16
	ds_store_b128 v4, v[48:51]
	scratch_store_b32 off, v4, off offset:60 ; 4-byte Folded Spill
	ds_store_b128 v4, v[60:63] offset:16
	ds_store_b128 v5, v[36:39] offset:12096
	;; [unrolled: 1-line block ×3, first 2 shown]
	s_and_saveexec_b32 s0, vcc_lo
	s_cbranch_execz .LBB0_7
; %bb.6:
	scratch_load_b32 v0, off, off offset:48 ; 4-byte Folded Reload
	v_fma_f64 v[34:35], v[34:35], 2.0, -v[122:123]
	v_fma_f64 v[32:33], v[32:33], 2.0, -v[120:121]
	s_wait_loadcnt 0x0
	ds_store_b128 v0, v[32:35]
	ds_store_b128 v0, v[120:123] offset:16
.LBB0_7:
	s_wait_alu 0xfffe
	s_or_b32 exec_lo, exec_lo, s0
	v_and_b32_e32 v0, 1, v220
	global_wb scope:SCOPE_SE
	s_wait_storecnt_dscnt 0x0
	s_barrier_signal -1
	s_barrier_wait -1
	global_inv scope:SCOPE_SE
	v_lshlrev_b32_e32 v1, 5, v0
	s_mov_b32 s0, 0xe8584caa
	s_mov_b32 s1, 0x3febb67a
	;; [unrolled: 1-line block ×3, first 2 shown]
	s_wait_alu 0xfffe
	s_mov_b32 s10, s0
	s_clause 0x1
	global_load_b128 v[36:39], v1, s[2:3]
	global_load_b128 v[32:35], v1, s[2:3] offset:16
	ds_load_b128 v[40:43], v219 offset:6048
	ds_load_b128 v[44:47], v219 offset:12096
	;; [unrolled: 1-line block ×7, first 2 shown]
	v_and_b32_e32 v4, 0xffff, v88
	v_lshrrev_b32_e32 v1, 1, v220
	v_lshrrev_b32_e32 v2, 1, v184
	;; [unrolled: 1-line block ×3, first 2 shown]
	s_delay_alu instid0(VALU_DEP_4) | instskip(NEXT) | instid1(VALU_DEP_4)
	v_mul_u32_u24_e32 v7, 0xaaab, v4
	v_mul_u32_u24_e32 v1, 6, v1
	s_delay_alu instid0(VALU_DEP_4) | instskip(NEXT) | instid1(VALU_DEP_4)
	v_mul_u32_u24_e32 v2, 6, v2
	v_mul_u32_u24_e32 v3, 6, v3
	;; [unrolled: 1-line block ×3, first 2 shown]
	v_lshrrev_b32_e32 v7, 18, v7
	v_or_b32_e32 v1, v1, v0
	v_or_b32_e32 v2, v2, v0
	;; [unrolled: 1-line block ×3, first 2 shown]
	v_lshrrev_b32_e32 v4, 20, v4
	s_wait_loadcnt_dscnt 0x106
	v_mul_f64_e32 v[68:69], v[42:43], v[38:39]
	s_wait_loadcnt_dscnt 0x5
	v_mul_f64_e32 v[70:71], v[46:47], v[34:35]
	v_mul_f64_e32 v[72:73], v[40:41], v[38:39]
	;; [unrolled: 1-line block ×3, first 2 shown]
	s_wait_dscnt 0x4
	v_mul_f64_e32 v[76:77], v[50:51], v[38:39]
	s_wait_dscnt 0x3
	v_mul_f64_e32 v[78:79], v[54:55], v[34:35]
	v_mul_f64_e32 v[80:81], v[48:49], v[38:39]
	;; [unrolled: 1-line block ×3, first 2 shown]
	s_wait_dscnt 0x2
	v_mul_f64_e32 v[84:85], v[58:59], v[38:39]
	s_wait_dscnt 0x1
	v_mul_f64_e32 v[86:87], v[62:63], v[34:35]
	v_mul_f64_e32 v[89:90], v[56:57], v[38:39]
	;; [unrolled: 1-line block ×3, first 2 shown]
	v_fma_f64 v[68:69], v[40:41], v[36:37], -v[68:69]
	v_fma_f64 v[70:71], v[44:45], v[32:33], -v[70:71]
	v_fma_f64 v[72:73], v[42:43], v[36:37], v[72:73]
	v_fma_f64 v[74:75], v[46:47], v[32:33], v[74:75]
	v_fma_f64 v[48:49], v[48:49], v[36:37], -v[76:77]
	v_fma_f64 v[52:53], v[52:53], v[32:33], -v[78:79]
	v_fma_f64 v[50:51], v[50:51], v[36:37], v[80:81]
	v_fma_f64 v[54:55], v[54:55], v[32:33], v[82:83]
	;; [unrolled: 4-line block ×3, first 2 shown]
	ds_load_b128 v[40:43], v219
	ds_load_b128 v[44:47], v219 offset:2016
	v_and_b32_e32 v89, 0xff, v220
	v_and_b32_e32 v90, 0xff, v184
	global_wb scope:SCOPE_SE
	s_wait_dscnt 0x0
	s_barrier_signal -1
	s_barrier_wait -1
	v_mul_lo_u16 v5, 0xab, v89
	v_mul_lo_u16 v6, 0xab, v90
	global_inv scope:SCOPE_SE
	v_lshrrev_b16 v5, 10, v5
	v_lshrrev_b16 v6, 10, v6
	v_add_f64_e32 v[91:92], v[40:41], v[68:69]
	v_add_f64_e32 v[76:77], v[68:69], v[70:71]
	v_add_f64_e64 v[68:69], v[68:69], -v[70:71]
	v_add_f64_e32 v[78:79], v[72:73], v[74:75]
	v_add_f64_e64 v[93:94], v[72:73], -v[74:75]
	v_add_f64_e32 v[80:81], v[48:49], v[52:53]
	v_add_f64_e32 v[72:73], v[42:43], v[72:73]
	;; [unrolled: 1-line block ×9, first 2 shown]
	v_add_f64_e64 v[103:104], v[50:51], -v[54:55]
	v_add_f64_e64 v[105:106], v[48:49], -v[52:53]
	;; [unrolled: 1-line block ×4, first 2 shown]
	v_fma_f64 v[76:77], v[76:77], -0.5, v[40:41]
	v_add_f64_e32 v[40:41], v[91:92], v[70:71]
	v_fma_f64 v[78:79], v[78:79], -0.5, v[42:43]
	v_fma_f64 v[80:81], v[80:81], -0.5, v[44:45]
	v_add_f64_e32 v[42:43], v[72:73], v[74:75]
	v_fma_f64 v[82:83], v[82:83], -0.5, v[46:47]
	v_add_f64_e32 v[44:45], v[95:96], v[52:53]
	;; [unrolled: 2-line block ×4, first 2 shown]
	v_add_f64_e32 v[50:51], v[101:102], v[62:63]
	s_wait_alu 0xfffe
	v_fma_f64 v[56:57], v[93:94], s[10:11], v[76:77]
	v_fma_f64 v[52:53], v[93:94], s[0:1], v[76:77]
	;; [unrolled: 1-line block ×12, first 2 shown]
	v_mul_lo_u16 v76, v5, 6
	v_mul_lo_u16 v78, v7, 6
	;; [unrolled: 1-line block ×3, first 2 shown]
	v_lshlrev_b32_e32 v79, 4, v1
	v_and_b32_e32 v5, 0xffff, v5
	v_sub_nc_u16 v76, v220, v76
	v_sub_nc_u16 v119, v88, v78
	;; [unrolled: 1-line block ×3, first 2 shown]
	v_lshlrev_b32_e32 v78, 4, v2
	v_and_b32_e32 v6, 0xffff, v6
	v_and_b32_e32 v1, 0xff, v76
	v_lshlrev_b16 v76, 5, v119
	v_and_b32_e32 v3, 0xff, v77
	v_lshlrev_b32_e32 v77, 4, v0
	v_mul_u32_u24_e32 v5, 18, v5
	v_lshlrev_b32_e32 v0, 5, v1
	v_and_b32_e32 v76, 0xffff, v76
	v_lshlrev_b32_e32 v2, 5, v3
	v_mad_u16 v7, v7, 18, v119
	v_mul_u32_u24_e32 v6, 18, v6
	ds_store_b128 v79, v[40:43]
	ds_store_b128 v79, v[52:55] offset:32
	scratch_store_b32 off, v79, off offset:72 ; 4-byte Folded Spill
	ds_store_b128 v79, v[56:59] offset:64
	ds_store_b128 v78, v[44:47]
	ds_store_b128 v78, v[60:63] offset:32
	v_add_co_u32 v56, s12, s2, v76
	s_wait_alu 0xf1ff
	v_add_co_ci_u32_e64 v57, null, s3, 0, s12
	scratch_store_b32 off, v78, off offset:68 ; 4-byte Folded Spill
	ds_store_b128 v78, v[64:67] offset:64
	ds_store_b128 v77, v[48:51]
	ds_store_b128 v77, v[68:71] offset:32
	scratch_store_b32 off, v77, off offset:64 ; 4-byte Folded Spill
	ds_store_b128 v77, v[72:75] offset:64
	global_wb scope:SCOPE_SE
	s_wait_storecnt_dscnt 0x0
	s_barrier_signal -1
	s_barrier_wait -1
	global_inv scope:SCOPE_SE
	s_clause 0x5
	global_load_b128 v[40:43], v0, s[2:3] offset:80
	global_load_b128 v[52:55], v0, s[2:3] offset:64
	;; [unrolled: 1-line block ×4, first 2 shown]
	global_load_b128 v[60:63], v[56:57], off offset:64
	global_load_b128 v[56:59], v[56:57], off offset:80
	ds_load_b128 v[64:67], v219 offset:6048
	ds_load_b128 v[68:71], v219 offset:12096
	;; [unrolled: 1-line block ×7, first 2 shown]
	v_mul_lo_u16 v0, v89, 57
	v_mul_lo_u16 v2, v90, 57
	s_delay_alu instid0(VALU_DEP_2) | instskip(NEXT) | instid1(VALU_DEP_2)
	v_lshrrev_b16 v0, 10, v0
	v_lshrrev_b16 v2, 10, v2
	s_wait_loadcnt_dscnt 0x304
	v_mul_f64_e32 v[103:104], v[74:75], v[50:51]
	v_mul_f64_e32 v[97:98], v[70:71], v[42:43]
	;; [unrolled: 1-line block ×5, first 2 shown]
	s_wait_loadcnt_dscnt 0x203
	v_mul_f64_e32 v[105:106], v[78:79], v[46:47]
	v_mul_f64_e32 v[107:108], v[72:73], v[50:51]
	;; [unrolled: 1-line block ×3, first 2 shown]
	s_wait_loadcnt_dscnt 0x102
	v_mul_f64_e32 v[111:112], v[82:83], v[62:63]
	s_wait_loadcnt_dscnt 0x1
	v_mul_f64_e32 v[113:114], v[86:87], v[58:59]
	v_mul_f64_e32 v[115:116], v[80:81], v[62:63]
	;; [unrolled: 1-line block ×3, first 2 shown]
	v_fma_f64 v[72:73], v[72:73], v[48:49], -v[103:104]
	v_fma_f64 v[97:98], v[68:69], v[40:41], -v[97:98]
	;; [unrolled: 1-line block ×3, first 2 shown]
	v_fma_f64 v[99:100], v[66:67], v[52:53], v[99:100]
	v_fma_f64 v[101:102], v[70:71], v[40:41], v[101:102]
	v_fma_f64 v[76:77], v[76:77], v[44:45], -v[105:106]
	v_fma_f64 v[74:75], v[74:75], v[48:49], v[107:108]
	v_fma_f64 v[78:79], v[78:79], v[44:45], v[109:110]
	v_fma_f64 v[80:81], v[80:81], v[60:61], -v[111:112]
	v_fma_f64 v[84:85], v[84:85], v[56:57], -v[113:114]
	v_fma_f64 v[82:83], v[82:83], v[60:61], v[115:116]
	v_fma_f64 v[86:87], v[86:87], v[56:57], v[117:118]
	ds_load_b128 v[64:67], v219
	ds_load_b128 v[68:71], v219 offset:2016
	global_wb scope:SCOPE_SE
	s_wait_dscnt 0x0
	s_barrier_signal -1
	s_barrier_wait -1
	global_inv scope:SCOPE_SE
	v_add_f64_e32 v[124:125], v[68:69], v[72:73]
	v_add_f64_e32 v[103:104], v[95:96], v[97:98]
	;; [unrolled: 1-line block ×5, first 2 shown]
	v_add_f64_e64 v[117:118], v[99:100], -v[101:102]
	v_add_f64_e32 v[109:110], v[74:75], v[78:79]
	v_add_f64_e32 v[99:100], v[66:67], v[99:100]
	;; [unrolled: 1-line block ×3, first 2 shown]
	v_add_f64_e64 v[95:96], v[95:96], -v[97:98]
	v_add_f64_e32 v[113:114], v[82:83], v[86:87]
	v_add_f64_e64 v[132:133], v[74:75], -v[78:79]
	v_add_f64_e64 v[134:135], v[72:73], -v[76:77]
	;; [unrolled: 1-line block ×4, first 2 shown]
	v_add_f64_e32 v[126:127], v[70:71], v[74:75]
	v_add_f64_e32 v[128:129], v[91:92], v[80:81]
	;; [unrolled: 1-line block ×3, first 2 shown]
	v_fma_f64 v[103:104], v[103:104], -0.5, v[64:65]
	v_add_f64_e32 v[64:65], v[115:116], v[97:98]
	v_fma_f64 v[105:106], v[105:106], -0.5, v[66:67]
	v_fma_f64 v[107:108], v[107:108], -0.5, v[68:69]
	v_add_f64_e32 v[68:69], v[124:125], v[76:77]
	v_fma_f64 v[109:110], v[109:110], -0.5, v[70:71]
	v_add_f64_e32 v[66:67], v[99:100], v[101:102]
	v_fma_f64 v[111:112], v[111:112], -0.5, v[91:92]
	v_fma_f64 v[113:114], v[113:114], -0.5, v[93:94]
	v_add_f64_e32 v[70:71], v[126:127], v[78:79]
	v_add_f64_e32 v[72:73], v[128:129], v[84:85]
	;; [unrolled: 1-line block ×3, first 2 shown]
	v_fma_f64 v[80:81], v[117:118], s[10:11], v[103:104]
	v_fma_f64 v[76:77], v[117:118], s[0:1], v[103:104]
	;; [unrolled: 1-line block ×12, first 2 shown]
	v_mul_lo_u16 v103, v0, 18
	v_mul_lo_u16 v104, v2, 18
	;; [unrolled: 1-line block ×3, first 2 shown]
	v_and_b32_e32 v0, 0xffff, v0
	v_and_b32_e32 v2, 0xffff, v2
	v_sub_nc_u16 v103, v220, v103
	v_sub_nc_u16 v104, v184, v104
	;; [unrolled: 1-line block ×3, first 2 shown]
	v_mul_u32_u24_e32 v0, 54, v0
	v_mul_u32_u24_e32 v2, 54, v2
	v_and_b32_e32 v119, 0xff, v103
	v_and_b32_e32 v165, 0xff, v104
	v_lshlrev_b16 v103, 5, v164
	v_add_lshl_u32 v104, v5, v1, 4
	v_and_b32_e32 v1, 0xffff, v7
	v_add_lshl_u32 v7, v6, v3, 4
	v_lshlrev_b32_e32 v3, 5, v119
	v_and_b32_e32 v6, 0xffff, v103
	v_lshlrev_b32_e32 v5, 5, v165
	v_lshlrev_b32_e32 v1, 4, v1
	ds_store_b128 v104, v[64:67]
	ds_store_b128 v104, v[76:79] offset:96
	scratch_store_b32 off, v104, off offset:84 ; 4-byte Folded Spill
	ds_store_b128 v104, v[80:83] offset:192
	ds_store_b128 v7, v[68:71]
	ds_store_b128 v7, v[84:87] offset:96
	scratch_store_b32 off, v7, off offset:80 ; 4-byte Folded Spill
	ds_store_b128 v7, v[91:94] offset:192
	ds_store_b128 v1, v[72:75]
	ds_store_b128 v1, v[95:98] offset:96
	scratch_store_b32 off, v1, off offset:76 ; 4-byte Folded Spill
	ds_store_b128 v1, v[99:102] offset:192
	global_wb scope:SCOPE_SE
	s_wait_storecnt_dscnt 0x0
	s_barrier_signal -1
	s_barrier_wait -1
	global_inv scope:SCOPE_SE
	s_clause 0x1
	global_load_b128 v[64:67], v3, s[2:3] offset:272
	global_load_b128 v[76:79], v3, s[2:3] offset:256
	v_add_co_u32 v80, s12, s2, v6
	s_wait_alu 0xf1ff
	v_add_co_ci_u32_e64 v81, null, s3, 0, s12
	s_clause 0x3
	global_load_b128 v[72:75], v5, s[2:3] offset:256
	global_load_b128 v[68:71], v5, s[2:3] offset:272
	global_load_b128 v[84:87], v[80:81], off offset:256
	global_load_b128 v[80:83], v[80:81], off offset:272
	ds_load_b128 v[91:94], v219 offset:6048
	ds_load_b128 v[95:98], v219 offset:12096
	ds_load_b128 v[99:102], v219 offset:8064
	ds_load_b128 v[103:106], v219 offset:14112
	ds_load_b128 v[107:110], v219 offset:10080
	ds_load_b128 v[111:114], v219 offset:16128
	ds_load_b128 v[115:118], v219 offset:4032
	v_lshrrev_b16 v1, 1, v88
	v_mul_lo_u16 v3, v89, 19
	v_mul_lo_u16 v5, v90, 19
	v_mad_u16 v4, v4, 54, v164
	v_add_lshl_u32 v237, v0, v119, 4
	v_and_b32_e32 v1, 0xffff, v1
	v_lshrrev_b16 v3, 10, v3
	v_lshrrev_b16 v5, 10, v5
	v_and_b32_e32 v0, 0xffff, v4
	s_delay_alu instid0(VALU_DEP_4) | instskip(NEXT) | instid1(VALU_DEP_4)
	v_mul_u32_u24_e32 v1, 0x97b5, v1
	v_mul_lo_u16 v6, v3, 54
	s_delay_alu instid0(VALU_DEP_4) | instskip(NEXT) | instid1(VALU_DEP_4)
	v_mul_lo_u16 v7, v5, 54
	v_lshlrev_b32_e32 v218, 4, v0
	s_delay_alu instid0(VALU_DEP_4) | instskip(NEXT) | instid1(VALU_DEP_4)
	v_lshrrev_b32_e32 v1, 20, v1
	v_sub_nc_u16 v6, v220, v6
	s_delay_alu instid0(VALU_DEP_4) | instskip(NEXT) | instid1(VALU_DEP_2)
	v_sub_nc_u16 v7, v184, v7
	v_and_b32_e32 v6, 0xff, v6
	s_delay_alu instid0(VALU_DEP_2)
	v_and_b32_e32 v7, 0xff, v7
	s_wait_loadcnt_dscnt 0x505
	v_mul_f64_e32 v[126:127], v[97:98], v[66:67]
	s_wait_loadcnt 0x4
	v_mul_f64_e32 v[124:125], v[93:94], v[78:79]
	v_mul_f64_e32 v[128:129], v[91:92], v[78:79]
	;; [unrolled: 1-line block ×3, first 2 shown]
	s_wait_loadcnt_dscnt 0x304
	v_mul_f64_e32 v[132:133], v[101:102], v[74:75]
	s_wait_loadcnt_dscnt 0x203
	v_mul_f64_e32 v[134:135], v[105:106], v[70:71]
	v_mul_f64_e32 v[136:137], v[99:100], v[74:75]
	;; [unrolled: 1-line block ×3, first 2 shown]
	s_wait_loadcnt_dscnt 0x102
	v_mul_f64_e32 v[140:141], v[109:110], v[86:87]
	s_wait_loadcnt_dscnt 0x1
	v_mul_f64_e32 v[142:143], v[113:114], v[82:83]
	v_mul_f64_e32 v[144:145], v[107:108], v[86:87]
	;; [unrolled: 1-line block ×3, first 2 shown]
	v_fma_f64 v[126:127], v[95:96], v[64:65], -v[126:127]
	v_fma_f64 v[124:125], v[91:92], v[76:77], -v[124:125]
	v_fma_f64 v[128:129], v[93:94], v[76:77], v[128:129]
	v_fma_f64 v[130:131], v[97:98], v[64:65], v[130:131]
	v_fma_f64 v[99:100], v[99:100], v[72:73], -v[132:133]
	v_fma_f64 v[103:104], v[103:104], v[68:69], -v[134:135]
	v_fma_f64 v[101:102], v[101:102], v[72:73], v[136:137]
	v_fma_f64 v[105:106], v[105:106], v[68:69], v[138:139]
	v_fma_f64 v[107:108], v[107:108], v[84:85], -v[140:141]
	v_fma_f64 v[111:112], v[111:112], v[80:81], -v[142:143]
	v_fma_f64 v[109:110], v[109:110], v[84:85], v[144:145]
	v_fma_f64 v[113:114], v[113:114], v[80:81], v[146:147]
	ds_load_b128 v[91:94], v219
	ds_load_b128 v[95:98], v219 offset:2016
	global_wb scope:SCOPE_SE
	s_wait_dscnt 0x0
	s_barrier_signal -1
	s_barrier_wait -1
	global_inv scope:SCOPE_SE
	v_add_f64_e32 v[132:133], v[124:125], v[126:127]
	v_add_f64_e32 v[144:145], v[91:92], v[124:125]
	;; [unrolled: 1-line block ×3, first 2 shown]
	v_add_f64_e64 v[146:147], v[128:129], -v[130:131]
	v_add_f64_e32 v[136:137], v[99:100], v[103:104]
	v_add_f64_e32 v[128:129], v[93:94], v[128:129]
	;; [unrolled: 1-line block ×5, first 2 shown]
	v_add_f64_e64 v[124:125], v[124:125], -v[126:127]
	v_add_f64_e32 v[142:143], v[109:110], v[113:114]
	v_add_f64_e32 v[150:151], v[97:98], v[101:102]
	;; [unrolled: 1-line block ×3, first 2 shown]
	v_add_f64_e64 v[156:157], v[101:102], -v[105:106]
	v_add_f64_e64 v[158:159], v[99:100], -v[103:104]
	v_add_f64_e32 v[154:155], v[117:118], v[109:110]
	v_add_f64_e64 v[160:161], v[109:110], -v[113:114]
	v_add_f64_e64 v[162:163], v[107:108], -v[111:112]
	v_fma_f64 v[132:133], v[132:133], -0.5, v[91:92]
	v_add_f64_e32 v[89:90], v[144:145], v[126:127]
	v_fma_f64 v[134:135], v[134:135], -0.5, v[93:94]
	v_fma_f64 v[136:137], v[136:137], -0.5, v[95:96]
	v_add_f64_e32 v[91:92], v[128:129], v[130:131]
	v_fma_f64 v[138:139], v[138:139], -0.5, v[97:98]
	v_add_f64_e32 v[93:94], v[148:149], v[103:104]
	v_fma_f64 v[140:141], v[140:141], -0.5, v[115:116]
	v_fma_f64 v[117:118], v[142:143], -0.5, v[117:118]
	v_add_f64_e32 v[95:96], v[150:151], v[105:106]
	v_add_f64_e32 v[97:98], v[152:153], v[111:112]
	;; [unrolled: 1-line block ×3, first 2 shown]
	v_fma_f64 v[101:102], v[146:147], s[0:1], v[132:133]
	v_fma_f64 v[105:106], v[146:147], s[10:11], v[132:133]
	;; [unrolled: 1-line block ×12, first 2 shown]
	v_mul_lo_u16 v117, v1, 54
	s_delay_alu instid0(VALU_DEP_1)
	v_sub_nc_u16 v185, v88, v117
	v_add_lshl_u32 v88, v2, v165, 4
	v_lshlrev_b32_e32 v2, 5, v6
	v_lshlrev_b32_e32 v117, 5, v7
	ds_store_b128 v237, v[89:92]
	ds_store_b128 v237, v[101:104] offset:288
	ds_store_b128 v237, v[105:108] offset:576
	ds_store_b128 v88, v[93:96]
	ds_store_b128 v88, v[109:112] offset:288
	v_lshlrev_b16 v4, 5, v185
	scratch_store_b32 off, v88, off offset:100 ; 4-byte Folded Spill
	ds_store_b128 v88, v[113:116] offset:576
	ds_store_b128 v218, v[97:100]
	ds_store_b128 v218, v[124:127] offset:288
	ds_store_b128 v218, v[128:131] offset:576
	v_and_b32_e32 v0, 0xffff, v4
	global_wb scope:SCOPE_SE
	s_wait_storecnt_dscnt 0x0
	s_barrier_signal -1
	s_barrier_wait -1
	global_inv scope:SCOPE_SE
	v_add_co_u32 v104, s12, s2, v0
	s_wait_alu 0xf1ff
	v_add_co_ci_u32_e64 v105, null, s3, 0, s12
	s_clause 0x5
	global_load_b128 v[88:91], v2, s[2:3] offset:848
	global_load_b128 v[100:103], v2, s[2:3] offset:832
	;; [unrolled: 1-line block ×4, first 2 shown]
	global_load_b128 v[112:115], v[104:105], off offset:832
	global_load_b128 v[108:111], v[104:105], off offset:848
	ds_load_b128 v[104:107], v219 offset:6048
	ds_load_b128 v[116:119], v219 offset:12096
	;; [unrolled: 1-line block ×7, first 2 shown]
	v_and_b32_e32 v0, 0xffff, v3
	v_and_b32_e32 v2, 0xffff, v5
	v_mad_u16 v1, 0xa2, v1, v185
	s_delay_alu instid0(VALU_DEP_3) | instskip(NEXT) | instid1(VALU_DEP_3)
	v_mul_u32_u24_e32 v0, 0xa2, v0
	v_mul_u32_u24_e32 v2, 0xa2, v2
	s_delay_alu instid0(VALU_DEP_3) | instskip(NEXT) | instid1(VALU_DEP_3)
	v_and_b32_e32 v1, 0xffff, v1
	v_add_lshl_u32 v3, v0, v6, 4
	s_delay_alu instid0(VALU_DEP_3) | instskip(NEXT) | instid1(VALU_DEP_3)
	v_add_lshl_u32 v2, v2, v7, 4
	v_lshlrev_b32_e32 v0, 4, v1
	s_wait_loadcnt_dscnt 0x304
	v_mul_f64_e32 v[152:153], v[126:127], v[98:99]
	v_mul_f64_e32 v[146:147], v[118:119], v[90:91]
	;; [unrolled: 1-line block ×5, first 2 shown]
	s_wait_loadcnt_dscnt 0x203
	v_mul_f64_e32 v[154:155], v[130:131], v[94:95]
	v_mul_f64_e32 v[156:157], v[124:125], v[98:99]
	;; [unrolled: 1-line block ×3, first 2 shown]
	s_wait_loadcnt_dscnt 0x102
	v_mul_f64_e32 v[160:161], v[134:135], v[114:115]
	s_wait_loadcnt_dscnt 0x1
	v_mul_f64_e32 v[162:163], v[138:139], v[110:111]
	v_mul_f64_e32 v[164:165], v[132:133], v[114:115]
	;; [unrolled: 1-line block ×3, first 2 shown]
	v_fma_f64 v[124:125], v[124:125], v[96:97], -v[152:153]
	v_fma_f64 v[146:147], v[116:117], v[88:89], -v[146:147]
	;; [unrolled: 1-line block ×3, first 2 shown]
	v_fma_f64 v[148:149], v[106:107], v[100:101], v[148:149]
	v_fma_f64 v[150:151], v[118:119], v[88:89], v[150:151]
	v_fma_f64 v[128:129], v[128:129], v[92:93], -v[154:155]
	v_fma_f64 v[126:127], v[126:127], v[96:97], v[156:157]
	v_fma_f64 v[130:131], v[130:131], v[92:93], v[158:159]
	v_fma_f64 v[132:133], v[132:133], v[112:113], -v[160:161]
	v_fma_f64 v[136:137], v[136:137], v[108:109], -v[162:163]
	v_fma_f64 v[134:135], v[134:135], v[112:113], v[164:165]
	v_fma_f64 v[138:139], v[138:139], v[108:109], v[166:167]
	ds_load_b128 v[104:107], v219
	ds_load_b128 v[116:119], v219 offset:2016
	global_wb scope:SCOPE_SE
	s_wait_dscnt 0x0
	s_barrier_signal -1
	s_barrier_wait -1
	global_inv scope:SCOPE_SE
	v_add_f64_e32 v[168:169], v[116:117], v[124:125]
	v_add_f64_e32 v[152:153], v[144:145], v[146:147]
	;; [unrolled: 1-line block ×5, first 2 shown]
	v_add_f64_e64 v[166:167], v[148:149], -v[150:151]
	v_add_f64_e32 v[158:159], v[126:127], v[130:131]
	v_add_f64_e32 v[148:149], v[106:107], v[148:149]
	;; [unrolled: 1-line block ×7, first 2 shown]
	v_add_f64_e64 v[144:145], v[144:145], -v[146:147]
	v_add_f64_e64 v[126:127], v[126:127], -v[130:131]
	;; [unrolled: 1-line block ×5, first 2 shown]
	v_fma_f64 v[152:153], v[152:153], -0.5, v[104:105]
	v_add_f64_e32 v[104:105], v[164:165], v[146:147]
	v_fma_f64 v[154:155], v[154:155], -0.5, v[106:107]
	v_fma_f64 v[156:157], v[156:157], -0.5, v[116:117]
	v_add_f64_e32 v[116:117], v[168:169], v[128:129]
	v_fma_f64 v[158:159], v[158:159], -0.5, v[118:119]
	v_add_f64_e32 v[106:107], v[148:149], v[150:151]
	;; [unrolled: 2-line block ×4, first 2 shown]
	v_add_f64_e32 v[130:131], v[174:175], v[138:139]
                                        ; implicit-def: $vgpr168_vgpr169
                                        ; implicit-def: $vgpr172_vgpr173
	v_fma_f64 v[136:137], v[166:167], s[10:11], v[152:153]
	v_fma_f64 v[132:133], v[166:167], s[0:1], v[152:153]
	;; [unrolled: 1-line block ×12, first 2 shown]
	ds_store_b128 v3, v[104:107]
	ds_store_b128 v3, v[132:135] offset:864
	scratch_store_b32 off, v3, off offset:96 ; 4-byte Folded Spill
	ds_store_b128 v3, v[136:139] offset:1728
	ds_store_b128 v2, v[116:119]
	ds_store_b128 v2, v[140:143] offset:864
	scratch_store_b32 off, v2, off offset:92 ; 4-byte Folded Spill
	ds_store_b128 v2, v[144:147] offset:1728
	;; [unrolled: 4-line block ×3, first 2 shown]
	global_wb scope:SCOPE_SE
	s_wait_storecnt_dscnt 0x0
	s_barrier_signal -1
	s_barrier_wait -1
	global_inv scope:SCOPE_SE
	ds_load_b128 v[164:167], v219
	ds_load_b128 v[148:151], v219 offset:2592
	ds_load_b128 v[144:147], v219 offset:5184
	;; [unrolled: 1-line block ×6, first 2 shown]
	v_cmp_gt_u16_e64 s0, 36, v220
                                        ; implicit-def: $vgpr176_vgpr177
                                        ; implicit-def: $vgpr180_vgpr181
	s_delay_alu instid0(VALU_DEP_1)
	s_and_saveexec_b32 s1, s0
	s_cbranch_execz .LBB0_9
; %bb.8:
	ds_load_b128 v[160:163], v219 offset:2016
	ds_load_b128 v[124:127], v219 offset:4608
	;; [unrolled: 1-line block ×7, first 2 shown]
.LBB0_9:
	s_wait_alu 0xfffe
	s_or_b32 exec_lo, exec_lo, s1
	v_mad_co_u64_u32 v[156:157], null, 0x60, v220, s[2:3]
	v_subrev_nc_u32_e32 v0, 36, v220
	s_mov_b32 s18, 0xe976ee23
	s_mov_b32 s19, 0xbfe11646
	;; [unrolled: 1-line block ×4, first 2 shown]
	v_cndmask_b32_e64 v0, v0, v184, s0
	s_clause 0x1
	global_load_b128 v[136:139], v[156:157], off offset:2560
	global_load_b128 v[140:143], v[156:157], off offset:2576
	s_mov_b32 s12, 0xaaaaaaaa
	s_mov_b32 s14, 0x5476071b
	;; [unrolled: 1-line block ×3, first 2 shown]
	v_mul_i32_i24_e32 v1, 0x60, v0
	v_mul_hi_i32_i24_e32 v0, 0x60, v0
	s_mov_b32 s13, 0xbff2aaaa
	s_mov_b32 s15, 0x3fe77f67
	;; [unrolled: 1-line block ×10, first 2 shown]
	s_wait_alu 0xfffe
	s_mov_b32 s24, s14
	s_wait_loadcnt_dscnt 0x105
	v_mul_f64_e32 v[152:153], v[150:151], v[138:139]
	s_delay_alu instid0(VALU_DEP_1) | instskip(SKIP_1) | instid1(VALU_DEP_1)
	v_fma_f64 v[192:193], v[148:149], v[136:137], -v[152:153]
	v_mul_f64_e32 v[148:149], v[148:149], v[138:139]
	v_fma_f64 v[194:195], v[150:151], v[136:137], v[148:149]
	s_wait_loadcnt_dscnt 0x4
	v_mul_f64_e32 v[148:149], v[146:147], v[142:143]
	s_delay_alu instid0(VALU_DEP_1) | instskip(SKIP_1) | instid1(VALU_DEP_1)
	v_fma_f64 v[196:197], v[144:145], v[140:141], -v[148:149]
	v_mul_f64_e32 v[144:145], v[144:145], v[142:143]
	v_fma_f64 v[198:199], v[146:147], v[140:141], v[144:145]
	s_clause 0x1
	global_load_b128 v[144:147], v[156:157], off offset:2640
	global_load_b128 v[148:151], v[156:157], off offset:2624
	s_wait_loadcnt_dscnt 0x100
	v_mul_f64_e32 v[152:153], v[134:135], v[146:147]
	s_delay_alu instid0(VALU_DEP_1) | instskip(SKIP_4) | instid1(VALU_DEP_1)
	v_fma_f64 v[200:201], v[132:133], v[144:145], -v[152:153]
	s_clause 0x1
	global_load_b128 v[152:155], v[156:157], off offset:2592
	global_load_b128 v[156:159], v[156:157], off offset:2608
	v_mul_f64_e32 v[132:133], v[132:133], v[146:147]
	v_fma_f64 v[202:203], v[134:135], v[144:145], v[132:133]
	s_wait_loadcnt 0x2
	v_mul_f64_e32 v[132:133], v[130:131], v[150:151]
	s_delay_alu instid0(VALU_DEP_2) | instskip(NEXT) | instid1(VALU_DEP_2)
	v_add_f64_e32 v[254:255], v[194:195], v[202:203]
	v_fma_f64 v[204:205], v[128:129], v[148:149], -v[132:133]
	v_mul_f64_e32 v[128:129], v[128:129], v[150:151]
	v_add_co_u32 v132, s1, s2, v1
	s_wait_alu 0xf1ff
	v_add_co_ci_u32_e64 v133, s1, s3, v0, s1
	v_add_f64_e64 v[202:203], v[194:195], -v[202:203]
	s_mov_b32 s2, 0x36b3c0b5
	s_mov_b32 s3, 0x3fac98ee
	v_add_f64_e32 v[248:249], v[196:197], v[204:205]
	v_fma_f64 v[206:207], v[130:131], v[148:149], v[128:129]
	s_delay_alu instid0(VALU_DEP_1) | instskip(SKIP_2) | instid1(VALU_DEP_1)
	v_add_f64_e32 v[221:222], v[198:199], v[206:207]
	s_wait_loadcnt 0x1
	v_mul_f64_e32 v[128:129], v[118:119], v[154:155]
	v_fma_f64 v[208:209], v[116:117], v[152:153], -v[128:129]
	v_mul_f64_e32 v[116:117], v[116:117], v[154:155]
	s_delay_alu instid0(VALU_DEP_1) | instskip(SKIP_2) | instid1(VALU_DEP_1)
	v_fma_f64 v[210:211], v[118:119], v[152:153], v[116:117]
	s_wait_loadcnt 0x0
	v_mul_f64_e32 v[116:117], v[106:107], v[158:159]
	v_fma_f64 v[212:213], v[104:105], v[156:157], -v[116:117]
	v_mul_f64_e32 v[104:105], v[104:105], v[158:159]
	s_delay_alu instid0(VALU_DEP_2) | instskip(NEXT) | instid1(VALU_DEP_2)
	v_add_f64_e32 v[250:251], v[208:209], v[212:213]
	v_fma_f64 v[214:215], v[106:107], v[156:157], v[104:105]
	s_clause 0x1
	global_load_b128 v[104:107], v[132:133], off offset:2560
	global_load_b128 v[116:119], v[132:133], off offset:2576
	v_add_f64_e32 v[223:224], v[210:211], v[214:215]
	s_wait_loadcnt 0x1
	v_mul_f64_e32 v[128:129], v[126:127], v[106:107]
	s_delay_alu instid0(VALU_DEP_1) | instskip(SKIP_1) | instid1(VALU_DEP_1)
	v_fma_f64 v[238:239], v[124:125], v[104:105], -v[128:129]
	v_mul_f64_e32 v[124:125], v[124:125], v[106:107]
	v_fma_f64 v[240:241], v[126:127], v[104:105], v[124:125]
	s_wait_loadcnt 0x0
	v_mul_f64_e32 v[124:125], v[122:123], v[118:119]
	s_delay_alu instid0(VALU_DEP_1) | instskip(SKIP_1) | instid1(VALU_DEP_1)
	v_fma_f64 v[242:243], v[120:121], v[116:117], -v[124:125]
	v_mul_f64_e32 v[120:121], v[120:121], v[118:119]
	v_fma_f64 v[244:245], v[122:123], v[116:117], v[120:121]
	s_clause 0x1
	global_load_b128 v[120:123], v[132:133], off offset:2640
	global_load_b128 v[124:127], v[132:133], off offset:2624
	s_wait_loadcnt 0x1
	v_mul_f64_e32 v[128:129], v[182:183], v[122:123]
	s_delay_alu instid0(VALU_DEP_1) | instskip(SKIP_1) | instid1(VALU_DEP_2)
	v_fma_f64 v[246:247], v[180:181], v[120:121], -v[128:129]
	v_mul_f64_e32 v[128:129], v[180:181], v[122:123]
	v_add_f64_e32 v[225:226], v[238:239], v[246:247]
	s_delay_alu instid0(VALU_DEP_2) | instskip(SKIP_2) | instid1(VALU_DEP_2)
	v_fma_f64 v[180:181], v[182:183], v[120:121], v[128:129]
	s_wait_loadcnt 0x0
	v_mul_f64_e32 v[128:129], v[178:179], v[126:127]
	v_add_f64_e32 v[229:230], v[240:241], v[180:181]
	s_delay_alu instid0(VALU_DEP_2) | instskip(SKIP_1) | instid1(VALU_DEP_1)
	v_fma_f64 v[182:183], v[176:177], v[124:125], -v[128:129]
	v_mul_f64_e32 v[128:129], v[176:177], v[126:127]
	v_fma_f64 v[176:177], v[178:179], v[124:125], v[128:129]
	s_clause 0x1
	global_load_b128 v[128:131], v[132:133], off offset:2592
	global_load_b128 v[132:135], v[132:133], off offset:2608
	v_add_f64_e32 v[231:232], v[244:245], v[176:177]
	s_wait_loadcnt 0x1
	v_mul_f64_e32 v[178:179], v[170:171], v[130:131]
	s_delay_alu instid0(VALU_DEP_1) | instskip(SKIP_1) | instid1(VALU_DEP_1)
	v_fma_f64 v[178:179], v[168:169], v[128:129], -v[178:179]
	v_mul_f64_e32 v[168:169], v[168:169], v[130:131]
	v_fma_f64 v[168:169], v[170:171], v[128:129], v[168:169]
	s_wait_loadcnt 0x0
	v_mul_f64_e32 v[170:171], v[174:175], v[134:135]
	s_delay_alu instid0(VALU_DEP_1) | instskip(SKIP_1) | instid1(VALU_DEP_2)
	v_fma_f64 v[170:171], v[172:173], v[132:133], -v[170:171]
	v_mul_f64_e32 v[172:173], v[172:173], v[134:135]
	v_add_f64_e32 v[227:228], v[178:179], v[170:171]
	s_delay_alu instid0(VALU_DEP_2) | instskip(SKIP_3) | instid1(VALU_DEP_4)
	v_fma_f64 v[172:173], v[174:175], v[132:133], v[172:173]
	v_add_f64_e32 v[174:175], v[192:193], v[200:201]
	v_add_f64_e64 v[200:201], v[192:193], -v[200:201]
	v_add_f64_e64 v[192:193], v[198:199], -v[206:207]
	v_add_f64_e32 v[233:234], v[168:169], v[172:173]
	s_delay_alu instid0(VALU_DEP_4) | instskip(SKIP_1) | instid1(VALU_DEP_2)
	v_add_f64_e32 v[184:185], v[248:249], v[174:175]
	v_add_f64_e64 v[168:169], v[172:173], -v[168:169]
	v_add_f64_e32 v[252:253], v[250:251], v[184:185]
	v_add_f64_e32 v[184:185], v[221:222], v[254:255]
	s_delay_alu instid0(VALU_DEP_2) | instskip(NEXT) | instid1(VALU_DEP_2)
	v_add_f64_e32 v[188:189], v[164:165], v[252:253]
	v_add_f64_e32 v[216:217], v[223:224], v[184:185]
	;; [unrolled: 1-line block ×4, first 2 shown]
	s_delay_alu instid0(VALU_DEP_4) | instskip(NEXT) | instid1(VALU_DEP_4)
	v_fma_f64 v[252:253], v[252:253], s[12:13], v[188:189]
	v_add_f64_e32 v[190:191], v[166:167], v[216:217]
	s_delay_alu instid0(VALU_DEP_4) | instskip(NEXT) | instid1(VALU_DEP_4)
	v_add_f64_e32 v[166:167], v[164:165], v[225:226]
	v_add_f64_e32 v[235:236], v[233:234], v[184:185]
	s_delay_alu instid0(VALU_DEP_3) | instskip(NEXT) | instid1(VALU_DEP_3)
	v_fma_f64 v[216:217], v[216:217], s[12:13], v[190:191]
	v_add_f64_e32 v[166:167], v[227:228], v[166:167]
	s_delay_alu instid0(VALU_DEP_3)
	v_add_f64_e32 v[186:187], v[162:163], v[235:236]
	v_add_f64_e64 v[162:163], v[212:213], -v[208:209]
	v_add_f64_e64 v[208:209], v[192:193], -v[202:203]
	;; [unrolled: 1-line block ×3, first 2 shown]
	v_add_f64_e32 v[184:185], v[160:161], v[166:167]
	v_add_f64_e64 v[160:161], v[196:197], -v[204:205]
	v_add_f64_e64 v[204:205], v[214:215], -v[210:211]
	;; [unrolled: 1-line block ×7, first 2 shown]
	v_add_f64_e32 v[160:161], v[162:163], v[160:161]
	v_add_f64_e64 v[196:197], v[204:205], -v[192:193]
	v_add_f64_e32 v[192:193], v[204:205], v[192:193]
	v_add_f64_e64 v[162:163], v[200:201], -v[162:163]
	v_mul_f64_e32 v[248:249], s[18:19], v[194:195]
	s_wait_alu 0xfffe
	v_mul_f64_e32 v[194:195], s[2:3], v[214:215]
	v_add_f64_e32 v[2:3], v[160:161], v[200:201]
	v_mul_f64_e32 v[0:1], s[18:19], v[196:197]
	v_add_f64_e32 v[160:161], v[192:193], v[202:203]
	v_mul_f64_e32 v[192:193], s[2:3], v[210:211]
	v_mul_f64_e32 v[200:201], s[10:11], v[206:207]
	v_fma_f64 v[196:197], v[206:207], s[10:11], -v[248:249]
	v_fma_f64 v[194:195], v[221:222], s[14:15], -v[194:195]
	s_delay_alu instid0(VALU_DEP_4) | instskip(NEXT) | instid1(VALU_DEP_4)
	v_fma_f64 v[192:193], v[212:213], s[14:15], -v[192:193]
	v_fma_f64 v[200:201], v[162:163], s[28:29], -v[200:201]
	v_fma_f64 v[162:163], v[162:163], s[26:27], v[248:249]
	v_fma_f64 v[198:199], v[2:3], s[20:21], v[196:197]
	v_fma_f64 v[196:197], v[208:209], s[10:11], -v[0:1]
	v_add_f64_e32 v[6:7], v[194:195], v[216:217]
	v_add_f64_e32 v[4:5], v[192:193], v[252:253]
	s_delay_alu instid0(VALU_DEP_3) | instskip(NEXT) | instid1(VALU_DEP_3)
	v_fma_f64 v[196:197], v[160:161], s[20:21], v[196:197]
	v_add_f64_e32 v[194:195], v[198:199], v[6:7]
	v_add_f64_e64 v[198:199], v[6:7], -v[198:199]
	v_add_f64_e64 v[6:7], v[254:255], -v[223:224]
	v_fma_f64 v[223:224], v[166:167], s[12:13], v[184:185]
	v_add_f64_e64 v[192:193], v[4:5], -v[196:197]
	v_add_f64_e32 v[196:197], v[196:197], v[4:5]
	v_add_f64_e64 v[4:5], v[174:175], -v[250:251]
	v_add_f64_e64 v[174:175], v[202:203], -v[204:205]
	v_mul_f64_e32 v[202:203], s[10:11], v[208:209]
	v_mul_f64_e32 v[6:7], s[22:23], v[6:7]
	v_fma_f64 v[208:209], v[2:3], s[20:21], v[200:201]
	v_fma_f64 v[2:3], v[2:3], s[20:21], v[162:163]
	v_mul_f64_e32 v[4:5], s[22:23], v[4:5]
	v_fma_f64 v[0:1], v[174:175], s[26:27], v[0:1]
	v_fma_f64 v[202:203], v[174:175], s[28:29], -v[202:203]
	v_fma_f64 v[206:207], v[221:222], s[24:25], -v[6:7]
	v_fma_f64 v[6:7], v[214:215], s[2:3], v[6:7]
	v_fma_f64 v[204:205], v[212:213], s[24:25], -v[4:5]
	v_fma_f64 v[4:5], v[210:211], s[2:3], v[4:5]
	v_fma_f64 v[212:213], v[160:161], s[20:21], v[202:203]
	v_add_f64_e32 v[206:207], v[206:207], v[216:217]
	v_fma_f64 v[0:1], v[160:161], s[20:21], v[0:1]
	v_add_f64_e32 v[6:7], v[6:7], v[216:217]
	v_add_f64_e32 v[204:205], v[204:205], v[252:253]
	;; [unrolled: 1-line block ×3, first 2 shown]
	v_add_f64_e64 v[202:203], v[206:207], -v[208:209]
	v_add_f64_e32 v[206:207], v[208:209], v[206:207]
	v_add_f64_e64 v[210:211], v[6:7], -v[2:3]
	v_add_f64_e32 v[214:215], v[2:3], v[6:7]
	v_add_f64_e64 v[2:3], v[170:171], -v[178:179]
	v_add_f64_e64 v[6:7], v[244:245], -v[176:177]
	;; [unrolled: 1-line block ×8, first 2 shown]
	v_add_f64_e32 v[200:201], v[212:213], v[204:205]
	v_add_f64_e64 v[204:205], v[204:205], -v[212:213]
	v_add_f64_e32 v[208:209], v[0:1], v[4:5]
	v_add_f64_e64 v[212:213], v[4:5], -v[0:1]
	v_add_f64_e64 v[0:1], v[242:243], -v[182:183]
	;; [unrolled: 1-line block ×4, first 2 shown]
	v_fma_f64 v[231:232], v[235:236], s[12:13], v[186:187]
	v_add_f64_e64 v[162:163], v[168:169], -v[6:7]
	v_add_f64_e64 v[174:175], v[6:7], -v[170:171]
	v_add_f64_e32 v[6:7], v[168:169], v[6:7]
	ds_store_b128 v219, v[188:191]
	ds_store_b128 v219, v[208:211] offset:2592
	ds_store_b128 v219, v[200:203] offset:5184
	;; [unrolled: 1-line block ×6, first 2 shown]
	v_add_f64_e64 v[160:161], v[2:3], -v[0:1]
	v_add_f64_e64 v[172:173], v[0:1], -v[4:5]
	v_add_f64_e32 v[0:1], v[2:3], v[0:1]
	v_add_f64_e64 v[2:3], v[4:5], -v[2:3]
	v_mul_f64_e32 v[221:222], s[18:19], v[162:163]
	v_mul_f64_e32 v[162:163], s[2:3], v[182:183]
	v_add_f64_e32 v[6:7], v[6:7], v[170:171]
	v_mul_f64_e32 v[216:217], s[18:19], v[160:161]
	v_mul_f64_e32 v[160:161], s[2:3], v[180:181]
	v_add_f64_e32 v[0:1], v[0:1], v[4:5]
	v_add_f64_e64 v[4:5], v[170:171], -v[168:169]
	v_mul_f64_e32 v[168:169], s[10:11], v[172:173]
	v_mul_f64_e32 v[170:171], s[10:11], v[174:175]
	v_fma_f64 v[162:163], v[178:179], s[14:15], -v[162:163]
	v_fma_f64 v[164:165], v[172:173], s[10:11], -v[216:217]
	v_mul_f64_e32 v[172:173], s[22:23], v[225:226]
	v_fma_f64 v[160:161], v[176:177], s[14:15], -v[160:161]
	v_fma_f64 v[168:169], v[2:3], s[28:29], -v[168:169]
	;; [unrolled: 1-line block ×3, first 2 shown]
	v_fma_f64 v[2:3], v[2:3], s[26:27], v[216:217]
	v_fma_f64 v[4:5], v[4:5], s[26:27], v[221:222]
	v_add_f64_e32 v[238:239], v[162:163], v[231:232]
	v_fma_f64 v[166:167], v[0:1], s[20:21], v[164:165]
	v_fma_f64 v[164:165], v[174:175], s[10:11], -v[221:222]
	v_mul_f64_e32 v[174:175], s[22:23], v[227:228]
	v_fma_f64 v[176:177], v[176:177], s[24:25], -v[172:173]
	v_fma_f64 v[172:173], v[180:181], s[2:3], v[172:173]
	v_add_f64_e32 v[235:236], v[160:161], v[223:224]
	v_fma_f64 v[225:226], v[0:1], s[20:21], v[168:169]
	v_fma_f64 v[168:169], v[6:7], s[20:21], v[170:171]
	;; [unrolled: 1-line block ×4, first 2 shown]
	v_add_f64_e32 v[162:163], v[166:167], v[238:239]
	v_fma_f64 v[164:165], v[6:7], s[20:21], v[164:165]
	v_fma_f64 v[178:179], v[178:179], s[24:25], -v[174:175]
	v_fma_f64 v[174:175], v[182:183], s[2:3], v[174:175]
	v_add_f64_e32 v[170:171], v[176:177], v[223:224]
	v_add_f64_e32 v[4:5], v[172:173], v[223:224]
	v_add_f64_e64 v[166:167], v[238:239], -v[166:167]
	v_add_f64_e64 v[160:161], v[235:236], -v[164:165]
	v_add_f64_e32 v[227:228], v[178:179], v[231:232]
	v_add_f64_e32 v[6:7], v[174:175], v[231:232]
	;; [unrolled: 1-line block ×4, first 2 shown]
	v_add_f64_e64 v[168:169], v[170:171], -v[168:169]
	v_add_f64_e32 v[180:181], v[2:3], v[4:5]
	v_add_f64_e64 v[172:173], v[4:5], -v[2:3]
	v_add_f64_e64 v[178:179], v[227:228], -v[225:226]
	v_add_f64_e32 v[170:171], v[225:226], v[227:228]
	v_add_f64_e64 v[182:183], v[6:7], -v[0:1]
	v_add_f64_e32 v[174:175], v[0:1], v[6:7]
	s_and_saveexec_b32 s1, s0
	s_cbranch_execz .LBB0_11
; %bb.10:
	ds_store_b128 v219, v[184:187] offset:2016
	ds_store_b128 v219, v[180:183] offset:4608
	;; [unrolled: 1-line block ×7, first 2 shown]
.LBB0_11:
	s_wait_alu 0xfffe
	s_or_b32 exec_lo, exec_lo, s1
	global_wb scope:SCOPE_SE
	s_wait_dscnt 0x0
	s_barrier_signal -1
	s_barrier_wait -1
	global_inv scope:SCOPE_SE
	scratch_load_b64 v[0:1], off, off       ; 8-byte Folded Reload
	s_add_nc_u64 s[2:3], s[16:17], 0x46e0
	s_wait_loadcnt 0x0
	s_clause 0x2
	global_load_b128 v[184:187], v[0:1], off offset:18144
	global_load_b128 v[188:191], v219, s[2:3] offset:9072
	global_load_b128 v[192:195], v219, s[2:3] offset:2016
	ds_load_b128 v[196:199], v219
	ds_load_b128 v[200:203], v219 offset:2016
	global_load_b128 v[204:207], v219, s[2:3] offset:11088
	ds_load_b128 v[208:211], v219 offset:9072
	ds_load_b128 v[212:215], v219 offset:11088
	s_wait_loadcnt_dscnt 0x303
	v_mul_f64_e32 v[0:1], v[198:199], v[186:187]
	v_mul_f64_e32 v[2:3], v[196:197], v[186:187]
	s_delay_alu instid0(VALU_DEP_2) | instskip(NEXT) | instid1(VALU_DEP_2)
	v_fma_f64 v[196:197], v[196:197], v[184:185], -v[0:1]
	v_fma_f64 v[198:199], v[198:199], v[184:185], v[2:3]
	s_wait_loadcnt_dscnt 0x201
	v_mul_f64_e32 v[0:1], v[210:211], v[190:191]
	v_mul_f64_e32 v[2:3], v[208:209], v[190:191]
	global_load_b128 v[184:187], v219, s[2:3] offset:6048
	v_fma_f64 v[208:209], v[208:209], v[188:189], -v[0:1]
	v_fma_f64 v[210:211], v[210:211], v[188:189], v[2:3]
	global_load_b128 v[188:191], v219, s[2:3] offset:4032
	s_wait_loadcnt 0x3
	v_mul_f64_e32 v[0:1], v[202:203], v[194:195]
	v_mul_f64_e32 v[2:3], v[200:201], v[194:195]
	s_delay_alu instid0(VALU_DEP_2) | instskip(NEXT) | instid1(VALU_DEP_2)
	v_fma_f64 v[200:201], v[200:201], v[192:193], -v[0:1]
	v_fma_f64 v[202:203], v[202:203], v[192:193], v[2:3]
	global_load_b128 v[192:195], v219, s[2:3] offset:13104
	s_wait_loadcnt_dscnt 0x300
	v_mul_f64_e32 v[0:1], v[214:215], v[206:207]
	v_mul_f64_e32 v[2:3], v[212:213], v[206:207]
	s_delay_alu instid0(VALU_DEP_2) | instskip(NEXT) | instid1(VALU_DEP_2)
	v_fma_f64 v[212:213], v[212:213], v[204:205], -v[0:1]
	v_fma_f64 v[214:215], v[214:215], v[204:205], v[2:3]
	ds_load_b128 v[204:207], v219 offset:4032
	ds_load_b128 v[238:241], v219 offset:6048
	s_wait_loadcnt_dscnt 0x101
	v_mul_f64_e32 v[0:1], v[206:207], v[190:191]
	v_mul_f64_e32 v[2:3], v[204:205], v[190:191]
	s_delay_alu instid0(VALU_DEP_2) | instskip(NEXT) | instid1(VALU_DEP_2)
	v_fma_f64 v[204:205], v[204:205], v[188:189], -v[0:1]
	v_fma_f64 v[206:207], v[206:207], v[188:189], v[2:3]
	ds_load_b128 v[188:191], v219 offset:13104
	ds_load_b128 v[242:245], v219 offset:15120
	s_wait_loadcnt_dscnt 0x1
	v_mul_f64_e32 v[0:1], v[190:191], v[194:195]
	v_mul_f64_e32 v[2:3], v[188:189], v[194:195]
	s_delay_alu instid0(VALU_DEP_2) | instskip(NEXT) | instid1(VALU_DEP_2)
	v_fma_f64 v[188:189], v[188:189], v[192:193], -v[0:1]
	v_fma_f64 v[190:191], v[190:191], v[192:193], v[2:3]
	v_mul_f64_e32 v[0:1], v[240:241], v[186:187]
	v_mul_f64_e32 v[2:3], v[238:239], v[186:187]
	s_delay_alu instid0(VALU_DEP_2) | instskip(NEXT) | instid1(VALU_DEP_2)
	v_fma_f64 v[192:193], v[238:239], v[184:185], -v[0:1]
	v_fma_f64 v[194:195], v[240:241], v[184:185], v[2:3]
	global_load_b128 v[184:187], v219, s[2:3] offset:15120
	s_wait_loadcnt_dscnt 0x0
	v_mul_f64_e32 v[0:1], v[244:245], v[186:187]
	v_mul_f64_e32 v[2:3], v[242:243], v[186:187]
	s_delay_alu instid0(VALU_DEP_2) | instskip(NEXT) | instid1(VALU_DEP_2)
	v_fma_f64 v[238:239], v[242:243], v[184:185], -v[0:1]
	v_fma_f64 v[240:241], v[244:245], v[184:185], v[2:3]
	ds_store_b128 v219, v[196:199]
	ds_store_b128 v219, v[200:203] offset:2016
	ds_store_b128 v219, v[208:211] offset:9072
	;; [unrolled: 1-line block ×7, first 2 shown]
	s_and_saveexec_b32 s1, vcc_lo
	s_cbranch_execz .LBB0_13
; %bb.12:
	s_wait_alu 0xfffe
	v_add_co_u32 v0, s2, s2, v219
	s_wait_alu 0xf1ff
	v_add_co_ci_u32_e64 v1, null, s3, 0, s2
	s_clause 0x1
	global_load_b128 v[184:187], v[0:1], off offset:8064
	global_load_b128 v[188:191], v[0:1], off offset:17136
	ds_load_b128 v[192:195], v219 offset:8064
	ds_load_b128 v[196:199], v219 offset:17136
	s_wait_loadcnt_dscnt 0x101
	v_mul_f64_e32 v[0:1], v[194:195], v[186:187]
	v_mul_f64_e32 v[2:3], v[192:193], v[186:187]
	s_wait_loadcnt_dscnt 0x0
	v_mul_f64_e32 v[4:5], v[198:199], v[190:191]
	v_mul_f64_e32 v[6:7], v[196:197], v[190:191]
	s_delay_alu instid0(VALU_DEP_4) | instskip(NEXT) | instid1(VALU_DEP_4)
	v_fma_f64 v[190:191], v[192:193], v[184:185], -v[0:1]
	v_fma_f64 v[192:193], v[194:195], v[184:185], v[2:3]
	s_delay_alu instid0(VALU_DEP_4) | instskip(NEXT) | instid1(VALU_DEP_4)
	v_fma_f64 v[184:185], v[196:197], v[188:189], -v[4:5]
	v_fma_f64 v[186:187], v[198:199], v[188:189], v[6:7]
	ds_store_b128 v219, v[190:193] offset:8064
	ds_store_b128 v219, v[184:187] offset:17136
.LBB0_13:
	s_wait_alu 0xfffe
	s_or_b32 exec_lo, exec_lo, s1
	global_wb scope:SCOPE_SE
	s_wait_dscnt 0x0
	s_barrier_signal -1
	s_barrier_wait -1
	global_inv scope:SCOPE_SE
	ds_load_b128 v[188:191], v219
	ds_load_b128 v[192:195], v219 offset:2016
	ds_load_b128 v[212:215], v219 offset:9072
	;; [unrolled: 1-line block ×7, first 2 shown]
	v_lshlrev_b32_e32 v0, 5, v220
	s_delay_alu instid0(VALU_DEP_1)
	v_add_nc_u32_e32 v225, 0x2f40, v0
	s_and_saveexec_b32 s1, vcc_lo
	s_cbranch_execz .LBB0_15
; %bb.14:
	ds_load_b128 v[180:183], v219 offset:8064
	ds_load_b128 v[176:179], v219 offset:17136
.LBB0_15:
	s_wait_alu 0xfffe
	s_or_b32 exec_lo, exec_lo, s1
	global_wb scope:SCOPE_SE
	s_wait_dscnt 0x0
	s_barrier_signal -1
	s_barrier_wait -1
	global_inv scope:SCOPE_SE
	scratch_load_b32 v0, off, off offset:52 th:TH_LOAD_LU ; 4-byte Folded Reload
	v_add_f64_e64 v[212:213], v[188:189], -v[212:213]
	v_add_f64_e64 v[214:215], v[190:191], -v[214:215]
	;; [unrolled: 1-line block ×10, first 2 shown]
	v_fma_f64 v[188:189], v[188:189], 2.0, -v[212:213]
	v_fma_f64 v[190:191], v[190:191], 2.0, -v[214:215]
	;; [unrolled: 1-line block ×8, first 2 shown]
	s_wait_loadcnt 0x0
	ds_store_b128 v0, v[188:191]
	ds_store_b128 v0, v[212:215] offset:16
	scratch_load_b32 v0, off, off offset:56 th:TH_LOAD_LU ; 4-byte Folded Reload
	s_wait_loadcnt 0x0
	ds_store_b128 v0, v[192:195]
	ds_store_b128 v0, v[208:211] offset:16
	scratch_load_b32 v0, off, off offset:60 th:TH_LOAD_LU ; 4-byte Folded Reload
	s_wait_loadcnt 0x0
	ds_store_b128 v0, v[196:199]
	ds_store_b128 v0, v[204:207] offset:16
	ds_store_b128 v225, v[184:187]
	ds_store_b128 v225, v[200:203] offset:16
	s_and_saveexec_b32 s1, vcc_lo
	s_cbranch_execz .LBB0_17
; %bb.16:
	scratch_load_b32 v0, off, off offset:48 th:TH_LOAD_LU ; 4-byte Folded Reload
	v_fma_f64 v[182:183], v[182:183], 2.0, -v[178:179]
	v_fma_f64 v[180:181], v[180:181], 2.0, -v[176:177]
	s_wait_loadcnt 0x0
	ds_store_b128 v0, v[180:183]
	ds_store_b128 v0, v[176:179] offset:16
.LBB0_17:
	s_wait_alu 0xfffe
	s_or_b32 exec_lo, exec_lo, s1
	global_wb scope:SCOPE_SE
	s_wait_dscnt 0x0
	s_barrier_signal -1
	s_barrier_wait -1
	global_inv scope:SCOPE_SE
	ds_load_b128 v[180:183], v219 offset:6048
	ds_load_b128 v[184:187], v219 offset:12096
	;; [unrolled: 1-line block ×7, first 2 shown]
	s_mov_b32 s2, 0xe8584caa
	s_mov_b32 s3, 0xbfebb67a
	;; [unrolled: 1-line block ×3, first 2 shown]
	s_wait_alu 0xfffe
	s_mov_b32 s10, s2
	s_wait_dscnt 0x6
	v_mul_f64_e32 v[4:5], v[38:39], v[180:181]
	s_wait_dscnt 0x5
	v_mul_f64_e32 v[6:7], v[34:35], v[184:185]
	v_mul_f64_e32 v[0:1], v[38:39], v[182:183]
	v_mul_f64_e32 v[2:3], v[34:35], v[186:187]
	s_wait_dscnt 0x4
	v_mul_f64_e32 v[208:209], v[38:39], v[190:191]
	s_wait_dscnt 0x3
	v_mul_f64_e32 v[210:211], v[34:35], v[194:195]
	v_mul_f64_e32 v[212:213], v[38:39], v[188:189]
	v_mul_f64_e32 v[214:215], v[34:35], v[192:193]
	;; [unrolled: 6-line block ×3, first 2 shown]
	v_fma_f64 v[4:5], v[36:37], v[182:183], -v[4:5]
	v_fma_f64 v[6:7], v[32:33], v[186:187], -v[6:7]
	v_fma_f64 v[0:1], v[36:37], v[180:181], v[0:1]
	v_fma_f64 v[2:3], v[32:33], v[184:185], v[2:3]
	v_fma_f64 v[180:181], v[36:37], v[188:189], v[208:209]
	v_fma_f64 v[182:183], v[32:33], v[192:193], v[210:211]
	v_fma_f64 v[184:185], v[36:37], v[190:191], -v[212:213]
	v_fma_f64 v[186:187], v[32:33], v[194:195], -v[214:215]
	v_fma_f64 v[188:189], v[36:37], v[196:197], v[216:217]
	v_fma_f64 v[190:191], v[32:33], v[200:201], v[221:222]
	v_fma_f64 v[192:193], v[36:37], v[198:199], -v[38:39]
	v_fma_f64 v[194:195], v[32:33], v[202:203], -v[34:35]
	ds_load_b128 v[32:35], v219
	ds_load_b128 v[36:39], v219 offset:2016
	global_wb scope:SCOPE_SE
	s_wait_dscnt 0x0
	s_barrier_signal -1
	s_barrier_wait -1
	global_inv scope:SCOPE_SE
	v_add_f64_e32 v[198:199], v[4:5], v[6:7]
	v_add_f64_e32 v[212:213], v[32:33], v[0:1]
	;; [unrolled: 1-line block ×3, first 2 shown]
	v_add_f64_e64 v[0:1], v[0:1], -v[2:3]
	v_add_f64_e32 v[200:201], v[180:181], v[182:183]
	v_add_f64_e32 v[221:222], v[38:39], v[184:185]
	v_add_f64_e32 v[202:203], v[184:185], v[186:187]
	v_add_f64_e32 v[223:224], v[204:205], v[188:189]
	v_add_f64_e32 v[208:209], v[188:189], v[190:191]
	v_add_f64_e32 v[216:217], v[36:37], v[180:181]
	v_add_f64_e64 v[227:228], v[184:185], -v[186:187]
	v_add_f64_e64 v[229:230], v[180:181], -v[182:183]
	;; [unrolled: 1-line block ×3, first 2 shown]
	v_add_f64_e32 v[4:5], v[34:35], v[4:5]
	v_add_f64_e32 v[225:226], v[206:207], v[192:193]
	;; [unrolled: 1-line block ×3, first 2 shown]
	v_add_f64_e64 v[231:232], v[192:193], -v[194:195]
	v_fma_f64 v[198:199], v[198:199], -0.5, v[34:35]
	v_fma_f64 v[196:197], v[196:197], -0.5, v[32:33]
	v_add_f64_e32 v[32:33], v[212:213], v[2:3]
	v_fma_f64 v[200:201], v[200:201], -0.5, v[36:37]
	v_fma_f64 v[202:203], v[202:203], -0.5, v[38:39]
	v_add_f64_e32 v[38:39], v[221:222], v[186:187]
	v_fma_f64 v[204:205], v[208:209], -0.5, v[204:205]
	v_add_f64_e64 v[208:209], v[188:189], -v[190:191]
	v_add_f64_e32 v[180:181], v[223:224], v[190:191]
	v_add_f64_e32 v[36:37], v[216:217], v[182:183]
	;; [unrolled: 1-line block ×4, first 2 shown]
	v_fma_f64 v[206:207], v[210:211], -0.5, v[206:207]
	s_wait_alu 0xfffe
	v_fma_f64 v[186:187], v[0:1], s[10:11], v[198:199]
	v_fma_f64 v[190:191], v[0:1], s[2:3], v[198:199]
	scratch_load_b32 v0, off, off offset:72 th:TH_LOAD_LU ; 4-byte Folded Reload
	v_fma_f64 v[184:185], v[214:215], s[2:3], v[196:197]
	v_fma_f64 v[188:189], v[214:215], s[10:11], v[196:197]
	;; [unrolled: 1-line block ×8, first 2 shown]
	s_wait_loadcnt 0x0
	ds_store_b128 v0, v[32:35]
	ds_store_b128 v0, v[184:187] offset:32
	ds_store_b128 v0, v[188:191] offset:64
	scratch_load_b32 v0, off, off offset:68 th:TH_LOAD_LU ; 4-byte Folded Reload
	v_fma_f64 v[202:203], v[208:209], s[10:11], v[206:207]
	v_fma_f64 v[206:207], v[208:209], s[2:3], v[206:207]
	s_wait_loadcnt 0x0
	ds_store_b128 v0, v[36:39]
	ds_store_b128 v0, v[192:195] offset:32
	ds_store_b128 v0, v[196:199] offset:64
	scratch_load_b32 v0, off, off offset:64 th:TH_LOAD_LU ; 4-byte Folded Reload
	s_wait_loadcnt 0x0
	ds_store_b128 v0, v[180:183]
	ds_store_b128 v0, v[200:203] offset:32
	ds_store_b128 v0, v[204:207] offset:64
	global_wb scope:SCOPE_SE
	s_wait_dscnt 0x0
	s_barrier_signal -1
	s_barrier_wait -1
	global_inv scope:SCOPE_SE
	ds_load_b128 v[32:35], v219 offset:6048
	ds_load_b128 v[36:39], v219 offset:12096
	;; [unrolled: 1-line block ×7, first 2 shown]
	s_wait_dscnt 0x6
	v_mul_f64_e32 v[4:5], v[54:55], v[32:33]
	s_wait_dscnt 0x5
	v_mul_f64_e32 v[6:7], v[42:43], v[36:37]
	v_mul_f64_e32 v[0:1], v[54:55], v[34:35]
	v_mul_f64_e32 v[2:3], v[42:43], v[38:39]
	s_wait_dscnt 0x4
	v_mul_f64_e32 v[42:43], v[50:51], v[182:183]
	s_wait_dscnt 0x3
	v_mul_f64_e32 v[54:55], v[46:47], v[186:187]
	v_mul_f64_e32 v[50:51], v[50:51], v[180:181]
	v_mul_f64_e32 v[46:47], v[46:47], v[184:185]
	;; [unrolled: 6-line block ×3, first 2 shown]
	v_fma_f64 v[4:5], v[52:53], v[34:35], -v[4:5]
	v_fma_f64 v[6:7], v[40:41], v[38:39], -v[6:7]
	v_fma_f64 v[0:1], v[52:53], v[32:33], v[0:1]
	v_fma_f64 v[2:3], v[40:41], v[36:37], v[2:3]
	;; [unrolled: 1-line block ×4, first 2 shown]
	v_fma_f64 v[48:49], v[48:49], v[182:183], -v[50:51]
	v_fma_f64 v[44:45], v[44:45], v[186:187], -v[46:47]
	v_fma_f64 v[46:47], v[60:61], v[188:189], v[200:201]
	v_fma_f64 v[50:51], v[56:57], v[192:193], v[202:203]
	v_fma_f64 v[54:55], v[56:57], v[194:195], -v[58:59]
	ds_load_b128 v[32:35], v219
	ds_load_b128 v[36:39], v219 offset:2016
	v_fma_f64 v[52:53], v[60:61], v[190:191], -v[62:63]
	global_wb scope:SCOPE_SE
	s_wait_dscnt 0x0
	s_barrier_signal -1
	s_barrier_wait -1
	global_inv scope:SCOPE_SE
	v_add_f64_e32 v[58:59], v[4:5], v[6:7]
	v_add_f64_e32 v[184:185], v[32:33], v[0:1]
	;; [unrolled: 1-line block ×3, first 2 shown]
	v_add_f64_e64 v[0:1], v[0:1], -v[2:3]
	v_add_f64_e32 v[60:61], v[40:41], v[42:43]
	v_add_f64_e32 v[188:189], v[36:37], v[40:41]
	v_add_f64_e64 v[202:203], v[40:41], -v[42:43]
	v_add_f64_e32 v[192:193], v[196:197], v[46:47]
	v_add_f64_e32 v[180:181], v[46:47], v[50:51]
	;; [unrolled: 3-line block ×3, first 2 shown]
	v_add_f64_e32 v[190:191], v[38:39], v[48:49]
	v_add_f64_e64 v[200:201], v[48:49], -v[44:45]
	v_add_f64_e32 v[194:195], v[198:199], v[52:53]
	v_add_f64_e32 v[182:183], v[52:53], v[54:55]
	v_add_f64_e64 v[204:205], v[52:53], -v[54:55]
	v_fma_f64 v[58:59], v[58:59], -0.5, v[34:35]
	v_fma_f64 v[56:57], v[56:57], -0.5, v[32:33]
	v_add_f64_e32 v[32:33], v[184:185], v[2:3]
	v_fma_f64 v[60:61], v[60:61], -0.5, v[36:37]
	v_add_f64_e32 v[36:37], v[188:189], v[42:43]
	v_add_f64_e32 v[40:41], v[192:193], v[50:51]
	v_fma_f64 v[180:181], v[180:181], -0.5, v[196:197]
	v_add_f64_e64 v[196:197], v[46:47], -v[50:51]
	v_add_f64_e32 v[34:35], v[4:5], v[6:7]
	v_fma_f64 v[62:63], v[62:63], -0.5, v[38:39]
	v_add_f64_e32 v[38:39], v[190:191], v[44:45]
	v_add_f64_e32 v[42:43], v[194:195], v[54:55]
	v_fma_f64 v[182:183], v[182:183], -0.5, v[198:199]
	v_fma_f64 v[46:47], v[0:1], s[10:11], v[58:59]
	v_fma_f64 v[50:51], v[0:1], s[2:3], v[58:59]
	scratch_load_b32 v0, off, off offset:84 th:TH_LOAD_LU ; 4-byte Folded Reload
	v_fma_f64 v[44:45], v[186:187], s[2:3], v[56:57]
	v_fma_f64 v[48:49], v[186:187], s[10:11], v[56:57]
	;; [unrolled: 1-line block ×4, first 2 shown]
	s_wait_loadcnt 0x0
	ds_store_b128 v0, v[32:35]
	ds_store_b128 v0, v[44:47] offset:96
	ds_store_b128 v0, v[48:51] offset:192
	scratch_load_b32 v0, off, off offset:80 th:TH_LOAD_LU ; 4-byte Folded Reload
	v_fma_f64 v[54:55], v[202:203], s[10:11], v[62:63]
	v_fma_f64 v[58:59], v[202:203], s[2:3], v[62:63]
	;; [unrolled: 1-line block ×6, first 2 shown]
	s_wait_loadcnt 0x0
	ds_store_b128 v0, v[36:39]
	ds_store_b128 v0, v[52:55] offset:96
	ds_store_b128 v0, v[56:59] offset:192
	scratch_load_b32 v0, off, off offset:76 th:TH_LOAD_LU ; 4-byte Folded Reload
	s_wait_loadcnt 0x0
	ds_store_b128 v0, v[40:43]
	ds_store_b128 v0, v[60:63] offset:96
	ds_store_b128 v0, v[180:183] offset:192
	global_wb scope:SCOPE_SE
	s_wait_dscnt 0x0
	s_barrier_signal -1
	s_barrier_wait -1
	global_inv scope:SCOPE_SE
	ds_load_b128 v[32:35], v219 offset:6048
	ds_load_b128 v[36:39], v219 offset:12096
	;; [unrolled: 1-line block ×7, first 2 shown]
	s_wait_dscnt 0x6
	v_mul_f64_e32 v[0:1], v[78:79], v[34:35]
	s_wait_dscnt 0x5
	v_mul_f64_e32 v[2:3], v[66:67], v[38:39]
	v_mul_f64_e32 v[4:5], v[78:79], v[32:33]
	v_mul_f64_e32 v[6:7], v[66:67], v[36:37]
	s_wait_dscnt 0x4
	v_mul_f64_e32 v[60:61], v[74:75], v[42:43]
	s_wait_dscnt 0x3
	v_mul_f64_e32 v[62:63], v[70:71], v[46:47]
	v_mul_f64_e32 v[66:67], v[74:75], v[40:41]
	v_mul_f64_e32 v[70:71], v[70:71], v[44:45]
	;; [unrolled: 6-line block ×3, first 2 shown]
	v_fma_f64 v[0:1], v[76:77], v[32:33], v[0:1]
	v_fma_f64 v[2:3], v[64:65], v[36:37], v[2:3]
	v_fma_f64 v[4:5], v[76:77], v[34:35], -v[4:5]
	v_fma_f64 v[6:7], v[64:65], v[38:39], -v[6:7]
	v_fma_f64 v[40:41], v[72:73], v[40:41], v[60:61]
	v_fma_f64 v[44:45], v[68:69], v[44:45], v[62:63]
	v_fma_f64 v[42:43], v[72:73], v[42:43], -v[66:67]
	v_fma_f64 v[46:47], v[68:69], v[46:47], -v[70:71]
	ds_load_b128 v[32:35], v219
	ds_load_b128 v[36:39], v219 offset:2016
	v_fma_f64 v[48:49], v[84:85], v[48:49], v[74:75]
	v_fma_f64 v[52:53], v[80:81], v[52:53], v[78:79]
	v_fma_f64 v[50:51], v[84:85], v[50:51], -v[86:87]
	v_fma_f64 v[54:55], v[80:81], v[54:55], -v[82:83]
	global_wb scope:SCOPE_SE
	s_wait_dscnt 0x0
	s_barrier_signal -1
	s_barrier_wait -1
	global_inv scope:SCOPE_SE
	v_add_f64_e32 v[72:73], v[32:33], v[0:1]
	v_add_f64_e32 v[60:61], v[0:1], v[2:3]
	v_add_f64_e64 v[0:1], v[0:1], -v[2:3]
	v_add_f64_e32 v[62:63], v[4:5], v[6:7]
	v_add_f64_e64 v[74:75], v[4:5], -v[6:7]
	v_add_f64_e32 v[4:5], v[34:35], v[4:5]
	v_add_f64_e32 v[64:65], v[40:41], v[44:45]
	;; [unrolled: 1-line block ×5, first 2 shown]
	v_add_f64_e64 v[84:85], v[42:43], -v[46:47]
	v_add_f64_e64 v[86:87], v[40:41], -v[44:45]
	v_add_f64_e32 v[68:69], v[48:49], v[52:53]
	v_add_f64_e32 v[70:71], v[50:51], v[54:55]
	;; [unrolled: 1-line block ×4, first 2 shown]
	v_add_f64_e64 v[180:181], v[50:51], -v[54:55]
	v_add_f64_e64 v[182:183], v[48:49], -v[52:53]
	v_fma_f64 v[60:61], v[60:61], -0.5, v[32:33]
	v_add_f64_e32 v[32:33], v[72:73], v[2:3]
	v_fma_f64 v[62:63], v[62:63], -0.5, v[34:35]
	v_add_f64_e32 v[34:35], v[4:5], v[6:7]
	v_fma_f64 v[64:65], v[64:65], -0.5, v[36:37]
	v_fma_f64 v[66:67], v[66:67], -0.5, v[38:39]
	v_add_f64_e32 v[36:37], v[76:77], v[44:45]
	v_add_f64_e32 v[38:39], v[78:79], v[46:47]
	v_fma_f64 v[68:69], v[68:69], -0.5, v[56:57]
	v_fma_f64 v[70:71], v[70:71], -0.5, v[58:59]
	v_add_f64_e32 v[40:41], v[80:81], v[52:53]
	v_add_f64_e32 v[42:43], v[82:83], v[54:55]
	v_fma_f64 v[44:45], v[74:75], s[2:3], v[60:61]
	v_fma_f64 v[48:49], v[74:75], s[10:11], v[60:61]
	;; [unrolled: 1-line block ×4, first 2 shown]
	ds_store_b128 v237, v[32:35]
	ds_store_b128 v237, v[44:47] offset:288
	ds_store_b128 v237, v[48:51] offset:576
	scratch_load_b32 v0, off, off offset:100 th:TH_LOAD_LU ; 4-byte Folded Reload
	v_fma_f64 v[52:53], v[84:85], s[2:3], v[64:65]
	v_fma_f64 v[54:55], v[86:87], s[10:11], v[66:67]
	;; [unrolled: 1-line block ×8, first 2 shown]
	s_wait_loadcnt 0x0
	ds_store_b128 v0, v[36:39]
	ds_store_b128 v0, v[52:55] offset:288
	ds_store_b128 v0, v[56:59] offset:576
	ds_store_b128 v218, v[40:43]
	ds_store_b128 v218, v[60:63] offset:288
	ds_store_b128 v218, v[64:67] offset:576
	global_wb scope:SCOPE_SE
	s_wait_dscnt 0x0
	s_barrier_signal -1
	s_barrier_wait -1
	global_inv scope:SCOPE_SE
	ds_load_b128 v[32:35], v219 offset:6048
	ds_load_b128 v[36:39], v219 offset:12096
	;; [unrolled: 1-line block ×7, first 2 shown]
	s_wait_dscnt 0x6
	v_mul_f64_e32 v[4:5], v[102:103], v[32:33]
	s_wait_dscnt 0x5
	v_mul_f64_e32 v[6:7], v[90:91], v[36:37]
	v_mul_f64_e32 v[0:1], v[102:103], v[34:35]
	;; [unrolled: 1-line block ×3, first 2 shown]
	s_wait_dscnt 0x3
	v_mul_f64_e32 v[62:63], v[94:95], v[46:47]
	s_wait_dscnt 0x2
	v_mul_f64_e32 v[72:73], v[114:115], v[48:49]
	;; [unrolled: 2-line block ×3, first 2 shown]
	v_mul_f64_e32 v[60:61], v[98:99], v[42:43]
	v_mul_f64_e32 v[66:67], v[94:95], v[44:45]
	;; [unrolled: 1-line block ×5, first 2 shown]
	v_fma_f64 v[4:5], v[100:101], v[34:35], -v[4:5]
	v_fma_f64 v[6:7], v[88:89], v[38:39], -v[6:7]
	v_fma_f64 v[0:1], v[100:101], v[32:33], v[0:1]
	v_fma_f64 v[2:3], v[88:89], v[36:37], v[2:3]
	;; [unrolled: 1-line block ×3, first 2 shown]
	v_fma_f64 v[50:51], v[112:113], v[50:51], -v[72:73]
	v_fma_f64 v[54:55], v[108:109], v[54:55], -v[74:75]
	ds_load_b128 v[32:35], v219
	ds_load_b128 v[36:39], v219 offset:2016
	v_fma_f64 v[40:41], v[96:97], v[40:41], v[60:61]
	global_wb scope:SCOPE_SE
	s_wait_dscnt 0x0
	v_fma_f64 v[52:53], v[108:109], v[52:53], v[70:71]
	s_barrier_signal -1
	s_barrier_wait -1
	global_inv scope:SCOPE_SE
	v_fma_f64 v[48:49], v[112:113], v[48:49], v[68:69]
	v_fma_f64 v[42:43], v[96:97], v[42:43], -v[64:65]
	v_fma_f64 v[46:47], v[92:93], v[46:47], -v[66:67]
	v_add_f64_e32 v[62:63], v[4:5], v[6:7]
	v_add_f64_e32 v[72:73], v[32:33], v[0:1]
	;; [unrolled: 1-line block ×3, first 2 shown]
	v_add_f64_e64 v[74:75], v[4:5], -v[6:7]
	v_add_f64_e32 v[4:5], v[34:35], v[4:5]
	v_add_f64_e32 v[70:71], v[50:51], v[54:55]
	;; [unrolled: 1-line block ×3, first 2 shown]
	v_add_f64_e64 v[0:1], v[0:1], -v[2:3]
	v_add_f64_e64 v[86:87], v[50:51], -v[54:55]
	v_add_f64_e32 v[64:65], v[40:41], v[44:45]
	v_add_f64_e32 v[76:77], v[36:37], v[40:41]
	v_add_f64_e64 v[84:85], v[40:41], -v[44:45]
	v_add_f64_e32 v[80:81], v[56:57], v[48:49]
	v_add_f64_e32 v[68:69], v[48:49], v[52:53]
	;; [unrolled: 1-line block ×4, first 2 shown]
	v_add_f64_e64 v[88:89], v[48:49], -v[52:53]
	v_fma_f64 v[34:35], v[62:63], -0.5, v[34:35]
	v_add_f64_e64 v[62:63], v[42:43], -v[46:47]
	v_fma_f64 v[32:33], v[60:61], -0.5, v[32:33]
	v_add_f64_e32 v[40:41], v[72:73], v[2:3]
	v_add_f64_e32 v[42:43], v[4:5], v[6:7]
	v_fma_f64 v[70:71], v[70:71], -0.5, v[58:59]
	v_add_f64_e32 v[50:51], v[82:83], v[54:55]
	v_fma_f64 v[36:37], v[64:65], -0.5, v[36:37]
	v_add_f64_e32 v[44:45], v[76:77], v[44:45]
	v_add_f64_e32 v[48:49], v[80:81], v[52:53]
	v_fma_f64 v[68:69], v[68:69], -0.5, v[56:57]
	v_fma_f64 v[38:39], v[66:67], -0.5, v[38:39]
	v_add_f64_e32 v[46:47], v[78:79], v[46:47]
	v_fma_f64 v[54:55], v[0:1], s[10:11], v[34:35]
	v_fma_f64 v[58:59], v[0:1], s[2:3], v[34:35]
	scratch_load_b32 v0, off, off offset:96 th:TH_LOAD_LU ; 4-byte Folded Reload
	v_fma_f64 v[52:53], v[74:75], s[2:3], v[32:33]
	v_fma_f64 v[56:57], v[74:75], s[10:11], v[32:33]
	;; [unrolled: 1-line block ×3, first 2 shown]
	s_wait_loadcnt 0x0
	ds_store_b128 v0, v[40:43]
	ds_store_b128 v0, v[52:55] offset:864
	ds_store_b128 v0, v[56:59] offset:1728
	scratch_load_b32 v0, off, off offset:92 th:TH_LOAD_LU ; 4-byte Folded Reload
	v_fma_f64 v[60:61], v[62:63], s[2:3], v[36:37]
	v_fma_f64 v[64:65], v[62:63], s[10:11], v[36:37]
	;; [unrolled: 1-line block ×7, first 2 shown]
	s_wait_loadcnt 0x0
	ds_store_b128 v0, v[44:47]
	ds_store_b128 v0, v[60:63] offset:864
	ds_store_b128 v0, v[64:67] offset:1728
	scratch_load_b32 v0, off, off offset:88 th:TH_LOAD_LU ; 4-byte Folded Reload
	s_wait_loadcnt 0x0
	ds_store_b128 v0, v[48:51]
	ds_store_b128 v0, v[32:35] offset:864
	ds_store_b128 v0, v[36:39] offset:1728
	global_wb scope:SCOPE_SE
	s_wait_dscnt 0x0
	s_barrier_signal -1
	s_barrier_wait -1
	global_inv scope:SCOPE_SE
	ds_load_b128 v[40:43], v219
	ds_load_b128 v[60:63], v219 offset:2592
	ds_load_b128 v[56:59], v219 offset:5184
	;; [unrolled: 1-line block ×6, first 2 shown]
	s_and_saveexec_b32 s1, s0
	s_cbranch_execz .LBB0_19
; %bb.18:
	ds_load_b128 v[32:35], v219 offset:2016
	ds_load_b128 v[36:39], v219 offset:4608
	ds_load_b128 v[176:179], v219 offset:7200
	ds_load_b128 v[160:163], v219 offset:9792
	ds_load_b128 v[164:167], v219 offset:12384
	ds_load_b128 v[168:171], v219 offset:14976
	ds_load_b128 v[172:175], v219 offset:17568
.LBB0_19:
	s_wait_alu 0xfffe
	s_or_b32 exec_lo, exec_lo, s1
	s_wait_dscnt 0x5
	v_mul_f64_e32 v[0:1], v[138:139], v[62:63]
	v_mul_f64_e32 v[2:3], v[138:139], v[60:61]
	s_wait_dscnt 0x4
	v_mul_f64_e32 v[4:5], v[142:143], v[58:59]
	v_mul_f64_e32 v[6:7], v[142:143], v[56:57]
	s_wait_dscnt 0x0
	v_mul_f64_e32 v[68:69], v[146:147], v[66:67]
	v_mul_f64_e32 v[70:71], v[146:147], v[64:65]
	v_mul_f64_e32 v[72:73], v[150:151], v[54:55]
	v_mul_f64_e32 v[74:75], v[150:151], v[52:53]
	;; [unrolled: 1-line block ×6, first 2 shown]
	s_mov_b32 s10, 0x37e14327
	s_mov_b32 s14, 0xe976ee23
	;; [unrolled: 1-line block ×14, first 2 shown]
	s_wait_alu 0xfffe
	s_mov_b32 s20, s16
	s_mov_b32 s24, s22
	;; [unrolled: 1-line block ×4, first 2 shown]
	v_fma_f64 v[0:1], v[136:137], v[60:61], v[0:1]
	v_fma_f64 v[2:3], v[136:137], v[62:63], -v[2:3]
	v_fma_f64 v[4:5], v[140:141], v[56:57], v[4:5]
	v_fma_f64 v[6:7], v[140:141], v[58:59], -v[6:7]
	;; [unrolled: 2-line block ×6, first 2 shown]
	v_add_f64_e32 v[60:61], v[0:1], v[56:57]
	v_add_f64_e32 v[62:63], v[2:3], v[58:59]
	;; [unrolled: 1-line block ×4, first 2 shown]
	v_add_f64_e64 v[4:5], v[4:5], -v[52:53]
	v_add_f64_e64 v[6:7], v[6:7], -v[54:55]
	v_add_f64_e32 v[52:53], v[48:49], v[44:45]
	v_add_f64_e32 v[54:55], v[50:51], v[46:47]
	v_add_f64_e64 v[44:45], v[44:45], -v[48:49]
	v_add_f64_e64 v[46:47], v[46:47], -v[50:51]
	;; [unrolled: 1-line block ×4, first 2 shown]
	v_add_f64_e32 v[48:49], v[64:65], v[60:61]
	v_add_f64_e32 v[50:51], v[66:67], v[62:63]
	v_add_f64_e64 v[56:57], v[60:61], -v[52:53]
	v_add_f64_e64 v[58:59], v[62:63], -v[54:55]
	;; [unrolled: 1-line block ×6, first 2 shown]
	v_add_f64_e32 v[4:5], v[44:45], v[4:5]
	v_add_f64_e32 v[6:7], v[46:47], v[6:7]
	v_add_f64_e64 v[44:45], v[0:1], -v[44:45]
	v_add_f64_e64 v[46:47], v[2:3], -v[46:47]
	;; [unrolled: 1-line block ×4, first 2 shown]
	v_add_f64_e32 v[48:49], v[52:53], v[48:49]
	v_add_f64_e32 v[50:51], v[54:55], v[50:51]
	v_add_f64_e64 v[52:53], v[52:53], -v[64:65]
	v_add_f64_e64 v[54:55], v[54:55], -v[66:67]
	v_mul_f64_e32 v[56:57], s[10:11], v[56:57]
	v_mul_f64_e32 v[58:59], s[10:11], v[58:59]
	;; [unrolled: 1-line block ×6, first 2 shown]
	v_add_f64_e32 v[0:1], v[4:5], v[0:1]
	v_add_f64_e32 v[2:3], v[6:7], v[2:3]
	;; [unrolled: 1-line block ×4, first 2 shown]
	v_mul_f64_e32 v[64:65], s[18:19], v[52:53]
	v_mul_f64_e32 v[66:67], s[18:19], v[54:55]
	v_fma_f64 v[4:5], v[52:53], s[18:19], v[56:57]
	v_fma_f64 v[6:7], v[54:55], s[18:19], v[58:59]
	;; [unrolled: 1-line block ×4, first 2 shown]
	v_fma_f64 v[68:69], v[72:73], s[2:3], -v[68:69]
	v_fma_f64 v[70:71], v[74:75], s[2:3], -v[70:71]
	s_wait_alu 0xfffe
	v_fma_f64 v[44:45], v[44:45], s[24:25], -v[76:77]
	v_fma_f64 v[46:47], v[46:47], s[24:25], -v[78:79]
	;; [unrolled: 1-line block ×4, first 2 shown]
	v_fma_f64 v[48:49], v[48:49], s[12:13], v[40:41]
	v_fma_f64 v[50:51], v[50:51], s[12:13], v[42:43]
	v_fma_f64 v[60:61], v[60:61], s[16:17], -v[64:65]
	v_fma_f64 v[62:63], v[62:63], s[16:17], -v[66:67]
	v_fma_f64 v[66:67], v[0:1], s[26:27], v[52:53]
	v_fma_f64 v[64:65], v[2:3], s[26:27], v[54:55]
	;; [unrolled: 1-line block ×6, first 2 shown]
	v_add_f64_e32 v[4:5], v[4:5], v[48:49]
	v_add_f64_e32 v[6:7], v[6:7], v[50:51]
	;; [unrolled: 1-line block ×7, first 2 shown]
	v_add_f64_e64 v[46:47], v[6:7], -v[66:67]
	v_add_f64_e32 v[48:49], v[2:3], v[72:73]
	v_add_f64_e64 v[50:51], v[74:75], -v[0:1]
	v_add_f64_e64 v[52:53], v[56:57], -v[70:71]
	v_add_f64_e32 v[54:55], v[68:69], v[58:59]
	v_add_f64_e32 v[56:57], v[70:71], v[56:57]
	v_add_f64_e64 v[58:59], v[58:59], -v[68:69]
	v_add_f64_e64 v[60:61], v[72:73], -v[2:3]
	v_add_f64_e32 v[62:63], v[0:1], v[74:75]
	v_add_f64_e64 v[64:65], v[4:5], -v[64:65]
	v_add_f64_e32 v[66:67], v[66:67], v[6:7]
	ds_store_b128 v219, v[40:43]
	ds_store_b128 v219, v[44:47] offset:2592
	ds_store_b128 v219, v[48:51] offset:5184
	;; [unrolled: 1-line block ×6, first 2 shown]
	s_and_saveexec_b32 s1, s0
	s_cbranch_execz .LBB0_21
; %bb.20:
	v_mul_f64_e32 v[0:1], v[122:123], v[172:173]
	v_mul_f64_e32 v[2:3], v[106:107], v[36:37]
	;; [unrolled: 1-line block ×12, first 2 shown]
	v_fma_f64 v[0:1], v[120:121], v[174:175], -v[0:1]
	v_fma_f64 v[2:3], v[104:105], v[38:39], -v[2:3]
	;; [unrolled: 1-line block ×4, first 2 shown]
	v_fma_f64 v[36:37], v[104:105], v[36:37], v[40:41]
	v_fma_f64 v[38:39], v[120:121], v[172:173], v[42:43]
	;; [unrolled: 1-line block ×6, first 2 shown]
	v_fma_f64 v[48:49], v[128:129], v[162:163], -v[52:53]
	v_fma_f64 v[50:51], v[132:133], v[166:167], -v[54:55]
	v_add_f64_e32 v[52:53], v[2:3], v[0:1]
	v_add_f64_e64 v[0:1], v[2:3], -v[0:1]
	v_add_f64_e32 v[54:55], v[6:7], v[4:5]
	v_add_f64_e64 v[4:5], v[6:7], -v[4:5]
	;; [unrolled: 2-line block ×4, first 2 shown]
	v_add_f64_e64 v[60:61], v[44:45], -v[46:47]
	v_add_f64_e32 v[44:45], v[46:47], v[44:45]
	v_add_f64_e32 v[42:43], v[48:49], v[50:51]
	v_add_f64_e64 v[46:47], v[50:51], -v[48:49]
	v_add_f64_e32 v[38:39], v[54:55], v[52:53]
	v_add_f64_e64 v[66:67], v[4:5], -v[0:1]
	;; [unrolled: 2-line block ×3, first 2 shown]
	v_add_f64_e64 v[6:7], v[60:61], -v[40:41]
	v_add_f64_e64 v[50:51], v[56:57], -v[44:45]
	;; [unrolled: 1-line block ×5, first 2 shown]
	v_add_f64_e32 v[40:41], v[60:61], v[40:41]
	v_add_f64_e32 v[4:5], v[46:47], v[4:5]
	v_add_f64_e64 v[46:47], v[0:1], -v[46:47]
	v_add_f64_e64 v[52:53], v[54:55], -v[52:53]
	v_add_f64_e64 v[56:57], v[58:59], -v[56:57]
	v_add_f64_e32 v[38:39], v[42:43], v[38:39]
	v_add_f64_e64 v[42:43], v[42:43], -v[54:55]
	v_mul_f64_e32 v[70:71], s[2:3], v[66:67]
	v_add_f64_e32 v[2:3], v[44:45], v[2:3]
	v_add_f64_e64 v[44:45], v[44:45], -v[58:59]
	v_mul_f64_e32 v[6:7], s[14:15], v[6:7]
	v_mul_f64_e32 v[50:51], s[10:11], v[50:51]
	v_mul_f64_e32 v[48:49], s[10:11], v[48:49]
	v_mul_f64_e32 v[60:61], s[2:3], v[62:63]
	v_mul_f64_e32 v[64:65], s[14:15], v[64:65]
	v_add_f64_e32 v[36:37], v[40:41], v[36:37]
	v_add_f64_e32 v[0:1], v[4:5], v[0:1]
	;; [unrolled: 1-line block ×3, first 2 shown]
	v_mul_f64_e32 v[54:55], s[18:19], v[42:43]
	v_add_f64_e32 v[32:33], v[32:33], v[2:3]
	v_mul_f64_e32 v[58:59], s[18:19], v[44:45]
	v_fma_f64 v[4:5], v[68:69], s[22:23], v[6:7]
	v_fma_f64 v[6:7], v[62:63], s[2:3], -v[6:7]
	v_fma_f64 v[40:41], v[42:43], s[18:19], v[48:49]
	v_fma_f64 v[42:43], v[44:45], s[18:19], v[50:51]
	v_fma_f64 v[44:45], v[68:69], s[24:25], -v[60:61]
	v_fma_f64 v[48:49], v[52:53], s[20:21], -v[48:49]
	;; [unrolled: 1-line block ×4, first 2 shown]
	v_fma_f64 v[38:39], v[38:39], s[12:13], v[34:35]
	v_fma_f64 v[52:53], v[52:53], s[16:17], -v[54:55]
	v_fma_f64 v[54:55], v[46:47], s[22:23], v[64:65]
	v_fma_f64 v[46:47], v[46:47], s[24:25], -v[70:71]
	v_fma_f64 v[2:3], v[2:3], s[12:13], v[32:33]
	v_fma_f64 v[56:57], v[56:57], s[16:17], -v[58:59]
	v_fma_f64 v[4:5], v[36:37], s[26:27], v[4:5]
	v_fma_f64 v[6:7], v[36:37], s[26:27], v[6:7]
	;; [unrolled: 1-line block ×3, first 2 shown]
	v_add_f64_e32 v[36:37], v[40:41], v[38:39]
	v_add_f64_e32 v[40:41], v[48:49], v[38:39]
	v_fma_f64 v[62:63], v[0:1], s[26:27], v[54:55]
	v_fma_f64 v[64:65], v[0:1], s[26:27], v[46:47]
	;; [unrolled: 1-line block ×3, first 2 shown]
	v_add_f64_e32 v[60:61], v[42:43], v[2:3]
	v_add_f64_e32 v[66:67], v[50:51], v[2:3]
	;; [unrolled: 1-line block ×4, first 2 shown]
	v_add_f64_e64 v[58:59], v[36:37], -v[4:5]
	v_add_f64_e64 v[54:55], v[40:41], -v[44:45]
	v_add_f64_e32 v[42:43], v[44:45], v[40:41]
	v_add_f64_e32 v[38:39], v[4:5], v[36:37]
	;; [unrolled: 1-line block ×4, first 2 shown]
	v_add_f64_e64 v[46:47], v[48:49], -v[6:7]
	v_add_f64_e32 v[50:51], v[6:7], v[48:49]
	v_add_f64_e64 v[48:49], v[2:3], -v[0:1]
	v_add_f64_e32 v[44:45], v[0:1], v[2:3]
	v_add_f64_e64 v[40:41], v[66:67], -v[64:65]
	v_add_f64_e64 v[36:37], v[60:61], -v[62:63]
	ds_store_b128 v219, v[32:35] offset:2016
	ds_store_b128 v219, v[56:59] offset:4608
	;; [unrolled: 1-line block ×7, first 2 shown]
.LBB0_21:
	s_wait_alu 0xfffe
	s_or_b32 exec_lo, exec_lo, s1
	global_wb scope:SCOPE_SE
	s_wait_dscnt 0x0
	s_barrier_signal -1
	s_barrier_wait -1
	global_inv scope:SCOPE_SE
	ds_load_b128 v[32:35], v219
	ds_load_b128 v[36:39], v219 offset:9072
	ds_load_b128 v[40:43], v219 offset:2016
	;; [unrolled: 1-line block ×7, first 2 shown]
	s_clause 0x1
	scratch_load_b128 v[83:86], off, off offset:16 th:TH_LOAD_LU
	scratch_load_b64 v[76:77], off, off offset:8 th:TH_LOAD_LU
	v_mad_co_u64_u32 v[78:79], null, s4, v220, 0
	s_mov_b32 s2, 0x8eac7900
	s_mov_b32 s3, 0x3f4ce55c
	s_movk_i32 s10, 0xfe47
	s_mov_b32 s11, -1
	s_wait_dscnt 0x6
	v_mul_f64_e32 v[4:5], v[10:11], v[38:39]
	v_mul_f64_e32 v[6:7], v[10:11], v[36:37]
	s_wait_dscnt 0x4
	v_mul_f64_e32 v[66:67], v[14:15], v[46:47]
	v_mul_f64_e32 v[14:15], v[14:15], v[44:45]
	;; [unrolled: 3-line block ×6, first 2 shown]
	s_wait_loadcnt 0x1
	v_mul_f64_e32 v[0:1], v[85:86], v[34:35]
	v_mul_f64_e32 v[2:3], v[85:86], v[32:33]
	scratch_load_b128 v[85:88], off, off offset:32 th:TH_LOAD_LU ; 16-byte Folded Reload
	s_wait_loadcnt 0x1
	v_mov_b32_e32 v80, v76
	s_delay_alu instid0(VALU_DEP_1) | instskip(NEXT) | instid1(VALU_DEP_1)
	v_mad_co_u64_u32 v[76:77], null, s6, v80, 0
	v_mad_co_u64_u32 v[80:81], null, s7, v80, v[77:78]
	v_mov_b32_e32 v77, v79
	s_mul_u64 s[6:7], s[4:5], 0x237
	s_wait_alu 0xfffe
	s_lshl_b64 s[6:7], s[6:7], 4
	s_delay_alu instid0(VALU_DEP_1) | instskip(NEXT) | instid1(VALU_DEP_3)
	v_mad_co_u64_u32 v[81:82], null, s5, v220, v[77:78]
	v_mov_b32_e32 v77, v80
	s_mul_u64 s[4:5], s[4:5], s[10:11]
	s_wait_alu 0xfffe
	s_lshl_b64 s[4:5], s[4:5], 4
	s_delay_alu instid0(VALU_DEP_2)
	v_mov_b32_e32 v79, v81
	v_fma_f64 v[0:1], v[83:84], v[32:33], v[0:1]
	v_fma_f64 v[32:33], v[83:84], v[34:35], -v[2:3]
	v_fma_f64 v[34:35], v[8:9], v[36:37], v[4:5]
	v_fma_f64 v[8:9], v[8:9], v[38:39], -v[6:7]
	;; [unrolled: 2-line block ×4, first 2 shown]
	v_lshlrev_b64_e32 v[2:3], 4, v[76:77]
	v_lshlrev_b64_e32 v[4:5], 4, v[78:79]
	s_delay_alu instid0(VALU_DEP_2) | instskip(SKIP_1) | instid1(VALU_DEP_3)
	v_add_co_u32 v2, s0, s8, v2
	s_wait_alu 0xf1ff
	v_add_co_ci_u32_e64 v3, s0, s9, v3, s0
	v_mul_f64_e32 v[6:7], s[2:3], v[34:35]
	v_mul_f64_e32 v[8:9], s[2:3], v[8:9]
	s_wait_loadcnt 0x0
	v_mul_f64_e32 v[10:11], v[87:88], v[42:43]
	v_mul_f64_e32 v[64:65], v[87:88], v[40:41]
	s_delay_alu instid0(VALU_DEP_2) | instskip(NEXT) | instid1(VALU_DEP_2)
	v_fma_f64 v[10:11], v[85:86], v[40:41], v[10:11]
	v_fma_f64 v[36:37], v[85:86], v[42:43], -v[64:65]
	v_fma_f64 v[40:41], v[12:13], v[46:47], -v[14:15]
	v_fma_f64 v[42:43], v[16:17], v[48:49], v[68:69]
	v_fma_f64 v[46:47], v[20:21], v[52:53], v[70:71]
	v_fma_f64 v[48:49], v[20:21], v[54:55], -v[22:23]
	v_fma_f64 v[52:53], v[24:25], v[58:59], -v[26:27]
	v_fma_f64 v[54:55], v[28:29], v[60:61], v[74:75]
	v_add_co_u32 v58, s0, v2, v4
	s_wait_alu 0xf1ff
	v_add_co_ci_u32_e64 v59, s0, v3, v5, s0
	v_mul_f64_e32 v[2:3], s[2:3], v[0:1]
	v_mul_f64_e32 v[4:5], s[2:3], v[32:33]
	v_add_co_u32 v60, s0, v58, s6
	s_wait_alu 0xf1ff
	v_add_co_ci_u32_e64 v61, s0, s7, v59, s0
	v_mul_f64_e32 v[14:15], s[2:3], v[38:39]
	v_mul_f64_e32 v[20:21], s[2:3], v[44:45]
	;; [unrolled: 1-line block ×3, first 2 shown]
	s_wait_alu 0xfffe
	v_add_co_u32 v34, s0, v60, s4
	v_mul_f64_e32 v[32:33], s[2:3], v[56:57]
	s_wait_alu 0xf1ff
	v_add_co_ci_u32_e64 v35, s0, s5, v61, s0
	v_mul_f64_e32 v[10:11], s[2:3], v[10:11]
	v_mul_f64_e32 v[12:13], s[2:3], v[36:37]
	;; [unrolled: 1-line block ×8, first 2 shown]
	v_add_co_u32 v36, s0, v34, s6
	s_wait_alu 0xf1ff
	v_add_co_ci_u32_e64 v37, s0, s7, v35, s0
	s_delay_alu instid0(VALU_DEP_2) | instskip(SKIP_1) | instid1(VALU_DEP_2)
	v_add_co_u32 v38, s0, v36, s4
	s_wait_alu 0xf1ff
	v_add_co_ci_u32_e64 v39, s0, s5, v37, s0
	s_delay_alu instid0(VALU_DEP_2) | instskip(SKIP_1) | instid1(VALU_DEP_2)
	;; [unrolled: 4-line block ×4, first 2 shown]
	v_add_co_u32 v0, s0, v42, s6
	s_wait_alu 0xf1ff
	v_add_co_ci_u32_e64 v1, s0, s7, v43, s0
	s_clause 0x4
	global_store_b128 v[58:59], v[2:5], off
	global_store_b128 v[60:61], v[6:9], off
	;; [unrolled: 1-line block ×8, first 2 shown]
	s_and_b32 exec_lo, exec_lo, vcc_lo
	s_cbranch_execz .LBB0_23
; %bb.22:
	scratch_load_b64 v[6:7], off, off th:TH_LOAD_LU ; 8-byte Folded Reload
	v_add_co_u32 v0, vcc_lo, v0, s4
	s_wait_alu 0xfffd
	v_add_co_ci_u32_e32 v1, vcc_lo, s5, v1, vcc_lo
	s_wait_loadcnt 0x0
	s_clause 0x1
	global_load_b128 v[2:5], v[6:7], off offset:8064
	global_load_b128 v[6:9], v[6:7], off offset:17136
	ds_load_b128 v[10:13], v219 offset:8064
	ds_load_b128 v[14:17], v219 offset:17136
	s_wait_loadcnt_dscnt 0x101
	v_mul_f64_e32 v[18:19], v[12:13], v[4:5]
	v_mul_f64_e32 v[4:5], v[10:11], v[4:5]
	s_wait_loadcnt_dscnt 0x0
	v_mul_f64_e32 v[20:21], v[16:17], v[8:9]
	v_mul_f64_e32 v[8:9], v[14:15], v[8:9]
	s_delay_alu instid0(VALU_DEP_4) | instskip(NEXT) | instid1(VALU_DEP_4)
	v_fma_f64 v[10:11], v[10:11], v[2:3], v[18:19]
	v_fma_f64 v[4:5], v[2:3], v[12:13], -v[4:5]
	s_delay_alu instid0(VALU_DEP_4) | instskip(NEXT) | instid1(VALU_DEP_4)
	v_fma_f64 v[12:13], v[14:15], v[6:7], v[20:21]
	v_fma_f64 v[8:9], v[6:7], v[16:17], -v[8:9]
	s_delay_alu instid0(VALU_DEP_4) | instskip(NEXT) | instid1(VALU_DEP_4)
	v_mul_f64_e32 v[2:3], s[2:3], v[10:11]
	v_mul_f64_e32 v[4:5], s[2:3], v[4:5]
	s_delay_alu instid0(VALU_DEP_4) | instskip(NEXT) | instid1(VALU_DEP_4)
	v_mul_f64_e32 v[6:7], s[2:3], v[12:13]
	v_mul_f64_e32 v[8:9], s[2:3], v[8:9]
	v_add_co_u32 v10, vcc_lo, v0, s6
	s_wait_alu 0xfffd
	v_add_co_ci_u32_e32 v11, vcc_lo, s7, v1, vcc_lo
	global_store_b128 v[0:1], v[2:5], off
	global_store_b128 v[10:11], v[6:9], off
.LBB0_23:
	s_nop 0
	s_sendmsg sendmsg(MSG_DEALLOC_VGPRS)
	s_endpgm
	.section	.rodata,"a",@progbits
	.p2align	6, 0x0
	.amdhsa_kernel bluestein_single_back_len1134_dim1_dp_op_CI_CI
		.amdhsa_group_segment_fixed_size 18144
		.amdhsa_private_segment_fixed_size 108
		.amdhsa_kernarg_size 104
		.amdhsa_user_sgpr_count 2
		.amdhsa_user_sgpr_dispatch_ptr 0
		.amdhsa_user_sgpr_queue_ptr 0
		.amdhsa_user_sgpr_kernarg_segment_ptr 1
		.amdhsa_user_sgpr_dispatch_id 0
		.amdhsa_user_sgpr_private_segment_size 0
		.amdhsa_wavefront_size32 1
		.amdhsa_uses_dynamic_stack 0
		.amdhsa_enable_private_segment 1
		.amdhsa_system_sgpr_workgroup_id_x 1
		.amdhsa_system_sgpr_workgroup_id_y 0
		.amdhsa_system_sgpr_workgroup_id_z 0
		.amdhsa_system_sgpr_workgroup_info 0
		.amdhsa_system_vgpr_workitem_id 0
		.amdhsa_next_free_vgpr 256
		.amdhsa_next_free_sgpr 30
		.amdhsa_reserve_vcc 1
		.amdhsa_float_round_mode_32 0
		.amdhsa_float_round_mode_16_64 0
		.amdhsa_float_denorm_mode_32 3
		.amdhsa_float_denorm_mode_16_64 3
		.amdhsa_fp16_overflow 0
		.amdhsa_workgroup_processor_mode 1
		.amdhsa_memory_ordered 1
		.amdhsa_forward_progress 0
		.amdhsa_round_robin_scheduling 0
		.amdhsa_exception_fp_ieee_invalid_op 0
		.amdhsa_exception_fp_denorm_src 0
		.amdhsa_exception_fp_ieee_div_zero 0
		.amdhsa_exception_fp_ieee_overflow 0
		.amdhsa_exception_fp_ieee_underflow 0
		.amdhsa_exception_fp_ieee_inexact 0
		.amdhsa_exception_int_div_zero 0
	.end_amdhsa_kernel
	.text
.Lfunc_end0:
	.size	bluestein_single_back_len1134_dim1_dp_op_CI_CI, .Lfunc_end0-bluestein_single_back_len1134_dim1_dp_op_CI_CI
                                        ; -- End function
	.section	.AMDGPU.csdata,"",@progbits
; Kernel info:
; codeLenInByte = 14512
; NumSgprs: 32
; NumVgprs: 256
; ScratchSize: 108
; MemoryBound: 0
; FloatMode: 240
; IeeeMode: 1
; LDSByteSize: 18144 bytes/workgroup (compile time only)
; SGPRBlocks: 3
; VGPRBlocks: 31
; NumSGPRsForWavesPerEU: 32
; NumVGPRsForWavesPerEU: 256
; Occupancy: 5
; WaveLimiterHint : 1
; COMPUTE_PGM_RSRC2:SCRATCH_EN: 1
; COMPUTE_PGM_RSRC2:USER_SGPR: 2
; COMPUTE_PGM_RSRC2:TRAP_HANDLER: 0
; COMPUTE_PGM_RSRC2:TGID_X_EN: 1
; COMPUTE_PGM_RSRC2:TGID_Y_EN: 0
; COMPUTE_PGM_RSRC2:TGID_Z_EN: 0
; COMPUTE_PGM_RSRC2:TIDIG_COMP_CNT: 0
	.text
	.p2alignl 7, 3214868480
	.fill 96, 4, 3214868480
	.type	__hip_cuid_3d524c7256b58cd8,@object ; @__hip_cuid_3d524c7256b58cd8
	.section	.bss,"aw",@nobits
	.globl	__hip_cuid_3d524c7256b58cd8
__hip_cuid_3d524c7256b58cd8:
	.byte	0                               ; 0x0
	.size	__hip_cuid_3d524c7256b58cd8, 1

	.ident	"AMD clang version 19.0.0git (https://github.com/RadeonOpenCompute/llvm-project roc-6.4.0 25133 c7fe45cf4b819c5991fe208aaa96edf142730f1d)"
	.section	".note.GNU-stack","",@progbits
	.addrsig
	.addrsig_sym __hip_cuid_3d524c7256b58cd8
	.amdgpu_metadata
---
amdhsa.kernels:
  - .args:
      - .actual_access:  read_only
        .address_space:  global
        .offset:         0
        .size:           8
        .value_kind:     global_buffer
      - .actual_access:  read_only
        .address_space:  global
        .offset:         8
        .size:           8
        .value_kind:     global_buffer
      - .actual_access:  read_only
        .address_space:  global
        .offset:         16
        .size:           8
        .value_kind:     global_buffer
      - .actual_access:  read_only
        .address_space:  global
        .offset:         24
        .size:           8
        .value_kind:     global_buffer
      - .actual_access:  read_only
        .address_space:  global
        .offset:         32
        .size:           8
        .value_kind:     global_buffer
      - .offset:         40
        .size:           8
        .value_kind:     by_value
      - .address_space:  global
        .offset:         48
        .size:           8
        .value_kind:     global_buffer
      - .address_space:  global
        .offset:         56
        .size:           8
        .value_kind:     global_buffer
      - .address_space:  global
        .offset:         64
        .size:           8
        .value_kind:     global_buffer
      - .address_space:  global
        .offset:         72
        .size:           8
        .value_kind:     global_buffer
      - .offset:         80
        .size:           4
        .value_kind:     by_value
      - .address_space:  global
        .offset:         88
        .size:           8
        .value_kind:     global_buffer
      - .address_space:  global
        .offset:         96
        .size:           8
        .value_kind:     global_buffer
    .group_segment_fixed_size: 18144
    .kernarg_segment_align: 8
    .kernarg_segment_size: 104
    .language:       OpenCL C
    .language_version:
      - 2
      - 0
    .max_flat_workgroup_size: 126
    .name:           bluestein_single_back_len1134_dim1_dp_op_CI_CI
    .private_segment_fixed_size: 108
    .sgpr_count:     32
    .sgpr_spill_count: 0
    .symbol:         bluestein_single_back_len1134_dim1_dp_op_CI_CI.kd
    .uniform_work_group_size: 1
    .uses_dynamic_stack: false
    .vgpr_count:     256
    .vgpr_spill_count: 26
    .wavefront_size: 32
    .workgroup_processor_mode: 1
amdhsa.target:   amdgcn-amd-amdhsa--gfx1201
amdhsa.version:
  - 1
  - 2
...

	.end_amdgpu_metadata
